;; amdgpu-corpus repo=ROCm/aiter kind=harvested arch=n/a opt=n/a

/root/src/amdgpu-assembly/repos/ROCm__aiter/hsa/gfx942/mla/mla_a8w8_qh128_m32x4_n16x2_msk0_ps.co:	file format elf64-amdgpu

Disassembly of section .text:

0000000000002300 <_ZN5aiter34mla_a8w8_qh128_m32x4_n16x2_msk0_psE>:
	s_and_b32 s1, s1, 0xffff                                   // 000000002300: 8601FF01 0000FFFF
	s_load_dwordx2 s[28:29], s[0:1], 0xe0                      // 000000002308: C0060700 000000E0
	v_lshrrev_b32_e32 v1, 10, v0                               // 000000002310: 2002008A
	v_lshrrev_b32_e32 v2, 10, v1                               // 000000002314: 2004028A
	v_and_b32_e32 v2, 0x3ff, v2                                // 000000002318: 260404FF 000003FF
	v_and_b32_e32 v1, 0x3ff, v1                                // 000000002320: 260202FF 000003FF
	v_and_b32_e32 v0, 0x3ff, v0                                // 000000002328: 260000FF 000003FF
	v_lshrrev_b32_e32 v3, 6, v0                                // 000000002330: 20060086
	v_and_b32_e32 v0, 63, v0                                   // 000000002334: 260000BF
	s_mov_b32 s2, s2                                           // 000000002338: BE820002
	s_mov_b32 s3, s3                                           // 00000000233C: BE830003
	s_mov_b32 s4, s4                                           // 000000002340: BE840004
	v_readfirstlane_b32 s7, v3                                 // 000000002344: 7E0E0503
	s_waitcnt lgkmcnt(0)                                       // 000000002348: BF8CC07F
	s_and_b32 s29, s29, 0xffff                                 // 00000000234C: 861DFF1D 0000FFFF
	s_load_dwordx2 s[32:33], s[28:29], 0x0                     // 000000002354: C006080E 00000000
	s_load_dwordx2 s[30:31], s[28:29], 0x8                     // 00000000235C: C006078E 00000008
	s_waitcnt lgkmcnt(0)                                       // 000000002364: BF8CC07F
	s_mul_i32 s56, s2, 4                                       // 000000002368: 92388402
	s_and_b32 s33, s33, 0xffff                                 // 00000000236C: 8621FF21 0000FFFF
	s_add_u32 s32, s56, s32                                    // 000000002374: 80202038
	s_addc_u32 s33, 0, s33                                     // 000000002378: 82212180
	s_load_dword s85, s[32:33], 0x0                            // 00000000237C: C0021550 00000000
	s_load_dword s86, s[32:33], 0x4                            // 000000002384: C0021590 00000004
	s_and_b32 s31, s31, 0xffff                                 // 00000000238C: 861FFF1F 0000FFFF
	s_waitcnt lgkmcnt(0)                                       // 000000002394: BF8CC07F
	s_cmp_eq_i32 s85, s86                                      // 000000002398: BF005655
	s_cbranch_scc1 label_3276                                  // 00000000239C: BF85324E
	s_mul_i32 s56, s85, 32                                     // 0000000023A0: 9238A055

00000000000023a4 <label_0029>:
	s_waitcnt vmcnt(0) expcnt(0) lgkmcnt(0)                    // 0000000023A4: BF8C0000
	s_barrier                                                  // 0000000023A8: BF8A0000
	s_add_u32 s30, s56, s30                                    // 0000000023AC: 801E1E38
	s_addc_u32 s31, 0, s31                                     // 0000000023B0: 821F1F80
	s_load_dword s87, s[30:31], 0x4                            // 0000000023B4: C00215CF 00000004
	s_load_dword s78, s[30:31], 0x8                            // 0000000023BC: C002138F 00000008
	s_load_dword s79, s[30:31], 0xc                            // 0000000023C4: C00213CF 0000000C
	s_load_dword s46, s[30:31], 0x10                           // 0000000023CC: C0020B8F 00000010
	s_load_dword s47, s[30:31], 0x14                           // 0000000023D4: C0020BCF 00000014
	s_load_dword s92, s[30:31], 0x18                           // 0000000023DC: C002170F 00000018
	s_load_dwordx2 s[8:9], s[0:1], 0x0                         // 0000000023E4: C0060200 00000000
	s_load_dwordx2 s[12:13], s[0:1], 0x10                      // 0000000023EC: C0060300 00000010
	s_load_dwordx2 s[16:17], s[0:1], 0x20                      // 0000000023F4: C0060400 00000020
	s_load_dwordx2 s[20:21], s[0:1], 0x30                      // 0000000023FC: C0060500 00000030
	s_load_dwordx2 s[24:25], s[0:1], 0x50                      // 000000002404: C0060600 00000050
	s_load_dword s64, s[0:1], 0x70                             // 00000000240C: C0021000 00000070
	s_load_dword s65, s[0:1], 0x80                             // 000000002414: C0021040 00000080
	s_load_dword s67, s[0:1], 0x90                             // 00000000241C: C00210C0 00000090
	s_load_dword s66, s[0:1], 0xa0                             // 000000002424: C0021080 000000A0
	s_load_dword s68, s[0:1], 0xb0                             // 00000000242C: C0021100 000000B0
	s_load_dword s69, s[0:1], 0xc0                             // 000000002434: C0021140 000000C0
	s_load_dwordx2 s[88:89], s[0:1], 0xf0                      // 00000000243C: C0061600 000000F0
	s_load_dwordx2 s[58:59], s[0:1], 0x100                     // 000000002444: C0060E80 00000100
	s_load_dwordx2 s[60:61], s[0:1], 0x110                     // 00000000244C: C0060F00 00000110
	s_waitcnt lgkmcnt(0)                                       // 000000002454: BF8CC07F
	s_mov_b32 s65, 0x80                                        // 000000002458: BEC100FF 00000080
	s_mul_i32 s56, s3, 4                                       // 000000002460: 92388403
	s_mul_i32 s75, 0x800, s65                                  // 000000002464: 924B41FF 00000800
	s_mul_i32 s74, 0x240, s65                                  // 00000000246C: 924A41FF 00000240
	s_mul_i32 s56, 4, s65                                      // 000000002474: 92384184
	s_mov_b32 s10, s75                                         // 000000002478: BE8A004B
	s_mov_b32 s90, -16                                         // 00000000247C: BEDA00D0
	s_mov_b32 s18, -16                                         // 000000002480: BE9200D0
	s_mov_b32 s14, s56                                         // 000000002484: BE8E0038
	s_mov_b32 s22, -16                                         // 000000002488: BE9600D0
	s_mov_b32 s26, -16                                         // 00000000248C: BE9A00D0
	s_mov_b32 s11, 0x20000                                     // 000000002490: BE8B00FF 00020000
	s_mov_b32 s91, 0x20000                                     // 000000002498: BEDB00FF 00020000
	s_mov_b32 s19, 0x20000                                     // 0000000024A0: BE9300FF 00020000
	s_mov_b32 s15, 0x20000                                     // 0000000024A8: BE8F00FF 00020000
	s_mov_b32 s23, 0x20000                                     // 0000000024B0: BE9700FF 00020000
	s_mov_b32 s27, 0x20000                                     // 0000000024B8: BE9B00FF 00020000
	s_and_b32 s9, s9, 0xffff                                   // 0000000024C0: 8609FF09 0000FFFF
	s_and_b32 s89, s89, 0xffff                                 // 0000000024C8: 8659FF59 0000FFFF
	s_and_b32 s17, s17, 0xffff                                 // 0000000024D0: 8611FF11 0000FFFF
	s_and_b32 s13, s13, 0xffff                                 // 0000000024D8: 860DFF0D 0000FFFF
	s_and_b32 s21, s21, 0xffff                                 // 0000000024E0: 8615FF15 0000FFFF
	s_and_b32 s25, s25, 0xffff                                 // 0000000024E8: 8619FF19 0000FFFF
	s_and_b32 s59, s59, 0xffff                                 // 0000000024F0: 863BFF3B 0000FFFF
	s_and_b32 s61, s61, 0xffff                                 // 0000000024F8: 863DFF3D 0000FFFF
	s_or_b32 s9, s9, 0x40000                                   // 000000002500: 8709FF09 00040000
	s_or_b32 s89, s89, 0x40000                                 // 000000002508: 8759FF59 00040000
	s_or_b32 s17, s17, 0x40000                                 // 000000002510: 8711FF11 00040000
	s_or_b32 s13, s13, 0x40000                                 // 000000002518: 870DFF0D 00040000
	s_or_b32 s21, s21, 0x40000                                 // 000000002520: 8715FF15 00040000
	s_or_b32 s25, s25, 0x40000                                 // 000000002528: 8719FF19 00040000
	s_waitcnt lgkmcnt(0)                                       // 000000002530: BF8CC07F
	s_load_dword s42, s[58:59], 0x0                            // 000000002534: C0020A9D 00000000
	s_load_dword s43, s[60:61], 0x0                            // 00000000253C: C0020ADE 00000000
	s_mov_b32 s80, 0                                           // 000000002544: BED00080
	s_mov_b32 s67, 1                                           // 000000002548: BEC30081
	s_sub_u32 s81, s79, s78                                    // 00000000254C: 80D14E4F
	s_cmp_le_u32 s81, s80                                      // 000000002550: BF0B5051
	s_cbranch_scc1 label_3276                                  // 000000002554: BF8531E0
	s_mov_b32 s69, 0                                           // 000000002558: BEC50080
	s_lshr_b32 s44, 32, s69                                    // 00000000255C: 8F2C45A0
	s_mul_i32 s73, s44, 4                                      // 000000002560: 9249842C
	s_mul_i32 s73, s73, s67                                    // 000000002564: 92494349
	s_mul_i32 s45, s4, s44                                     // 000000002568: 922D2C04
	s_sub_u32 s50, s47, s46                                    // 00000000256C: 80B22E2F
	s_cmp_le_u32 s50, s45                                      // 000000002570: BF0B2D32
	s_cbranch_scc1 label_3276                                  // 000000002574: BF8531D8
	s_mul_i32 s56, s50, 4                                      // 000000002578: 92388432
	s_mov_b32 s26, s56                                         // 00000000257C: BE9A0038
	s_mul_i32 s56, s46, 4                                      // 000000002580: 9238842E
	s_add_u32 s24, s56, s24                                    // 000000002584: 80181838
	s_addc_u32 s25, 0, s25                                     // 000000002588: 82191980
	s_mov_b32 s70, 0                                           // 00000000258C: BEC60080
	s_sub_u32 s71, s50, s45                                    // 000000002590: 80C72D32
	s_mul_i32 s39, s67, s44                                    // 000000002594: 92272C43
	s_mov_b32 s38, s71                                         // 000000002598: BEA60047
	v_cvt_f32_u32_e32 v20, s39                                 // 00000000259C: 7E280C27
	s_sub_i32 s56, 0, s39                                      // 0000000025A0: 81B82780
	v_rcp_iflag_f32_e32 v20, v20                               // 0000000025A4: 7E284714
	s_nop 0                                                    // 0000000025A8: BF800000
	v_mul_f32_e32 v20, 0x4f7ffffe, v20                         // 0000000025AC: 0A2828FF 4F7FFFFE
	v_cvt_u32_f32_e32 v20, v20                                 // 0000000025B4: 7E280F14
	v_mul_lo_u32 v21, s56, v20                                 // 0000000025B8: D2850015 00022838
	v_mul_hi_u32 v21, v20, v21                                 // 0000000025C0: D2860015 00022B14
	v_add_u32_e32 v20, v20, v21                                // 0000000025C8: 68282B14
	v_mul_hi_u32 v20, s38, v20                                 // 0000000025CC: D2860014 00022826
	v_mul_lo_u32 v21, v20, s39                                 // 0000000025D4: D2850015 00004F14
	v_sub_u32_e32 v23, s38, v21                                // 0000000025DC: 6A2E2A26
	v_add_u32_e32 v22, 1, v20                                  // 0000000025E0: 682C2881
	v_cmp_le_u32_e32 vcc, s39, v23                             // 0000000025E4: 7D962E27
	v_subrev_u32_e32 v21, s39, v23                             // 0000000025E8: 6C2A2E27
	s_nop 0                                                    // 0000000025EC: BF800000
	v_cndmask_b32_e32 v20, v20, v22, vcc                       // 0000000025F0: 00282D14
	v_cndmask_b32_e32 v23, v23, v21, vcc                       // 0000000025F4: 002E2B17
	v_add_u32_e32 v21, 1, v20                                  // 0000000025F8: 682A2881
	v_cmp_le_u32_e32 vcc, s39, v23                             // 0000000025FC: 7D962E27
	s_nop 1                                                    // 000000002600: BF800001
	v_cndmask_b32_e32 v23, v20, v21, vcc                       // 000000002604: 002E2B14
	s_nop 3                                                    // 000000002608: BF800003
	v_readfirstlane_b32 s40, v23                               // 00000000260C: 7E500517
	s_nop 3                                                    // 000000002610: BF800003
	s_mov_b32 s71, s40                                         // 000000002614: BEC70028
	s_mul_i32 s56, s71, s39                                    // 000000002618: 92382747
	s_sub_u32 s56, s38, s56                                    // 00000000261C: 80B83826
	s_mov_b32 s57, 0                                           // 000000002620: BEB90080
	s_cmp_lt_u32 s56, s44                                      // 000000002624: BF0A2C38
	s_cselect_b32 s57, s57, 1                                  // 000000002628: 85398139
	s_add_u32 s71, s57, s71                                    // 00000000262C: 80474739
	s_cmpk_eq_u32 s57, 0x1                                     // 000000002630: B4390001
	s_cselect_b32 s49, 0, s56                                  // 000000002634: 85313880
	s_mov_b32 s48, s49                                         // 000000002638: BEB00031
	v_lshrrev_b32_e32 v20, 3, v0                               // 00000000263C: 20280083
	v_and_b32_e32 v21, 1, v20                                  // 000000002640: 262A2881
	v_lshlrev_b32_e32 v8, 3, v21                               // 000000002644: 24102A83
	v_and_b32_e32 v20, 4, v20                                  // 000000002648: 26282884
	v_add_u32_e32 v8, v8, v20                                  // 00000000264C: 68102908
	v_lshrrev_b32_e32 v20, 4, v0                               // 000000002650: 20280084
	v_lshlrev_b32_e32 v21, 2, v20                              // 000000002654: 242A2882
	v_lshrrev_b32_e32 v20, 5, v0                               // 000000002658: 20280085
	v_lshlrev_b32_e32 v20, 2, v20                              // 00000000265C: 24282882
	v_add_u32_e32 v21, v20, v21                                // 000000002660: 682A2B14
	v_add_u32_e32 v8, v21, v8                                  // 000000002664: 68101115
	v_add_u32_e64 v8, v8, s7                                   // 000000002668: D1340008 00000F08
	v_add_u32_e32 v8, s45, v8                                  // 000000002670: 6810102D
	v_lshlrev_b32_e32 v8, 2, v8                                // 000000002674: 24101082
	buffer_load_dword v10, v8, s[24:27], 0 offen               // 000000002678: E0501000 80060A08
	v_add_u32_e32 v8, s73, v8                                  // 000000002680: 68101049
	buffer_load_dword v11, v8, s[24:27], 0 offen               // 000000002684: E0501000 80060B08
	v_add_u32_e32 v8, s73, v8                                  // 00000000268C: 68101049
	s_add_u32 s56, s80, s78                                    // 000000002690: 80384E50
	v_mov_b32_e32 v20, s56                                     // 000000002694: 7E280238
	v_mul_lo_u32 v21, s74, v20                                 // 000000002698: D2850015 0002284A
	v_mul_hi_u32 v22, s74, v20                                 // 0000000026A0: D2860016 0002284A
	s_nop 2                                                    // 0000000026A8: BF800002
	v_readfirstlane_b32 s56, v21                               // 0000000026AC: 7E700515
	v_readfirstlane_b32 s57, v22                               // 0000000026B0: 7E720516
	s_nop 4                                                    // 0000000026B4: BF800004
	s_add_u32 s16, s56, s16                                    // 0000000026B8: 80101038
	s_addc_u32 s17, s57, s17                                   // 0000000026BC: 82111139
	s_sub_u32 s56, s81, s80                                    // 0000000026C0: 80B85051
	s_mul_i32 s56, s56, s74                                    // 0000000026C4: 92384A38
	s_mov_b32 s18, s56                                         // 0000000026C8: BE920038
	s_mul_i32 s56, s7, 0x240                                   // 0000000026CC: 9238FF07 00000240
	v_lshlrev_b32_e32 v30, 2, v0                               // 0000000026D4: 243C0082
	v_add_u32_e32 v30, s56, v30                                // 0000000026D8: 683C3C38
	s_mul_i32 s56, s7, 0xc20                                   // 0000000026DC: 9238FF07 00000C20
	s_add_u32 s34, 0, s56                                      // 0000000026E4: 80223880
	s_add_u32 s35, 0x3080, s34                                 // 0000000026E8: 802322FF 00003080
	s_add_u32 s36, 0x3080, s35                                 // 0000000026F0: 802423FF 00003080
	v_lshrrev_b32_e32 v20, 4, v0                               // 0000000026F8: 20280084
	v_lshlrev_b32_e32 v21, 2, v20                              // 0000000026FC: 242A2882
	v_and_b32_e32 v20, 15, v0                                  // 000000002700: 2628008F
	v_lshrrev_b32_e32 v22, 2, v20                              // 000000002704: 202C2882
	v_mul_i32_i24_e32 v22, 0xc0, v22                           // 000000002708: 0C2C2CFF 000000C0
	v_add_u32_e32 v21, v22, v21                                // 000000002710: 682A2B16
	v_and_b32_e32 v20, 3, v0                                   // 000000002714: 26280083
	v_mul_i32_i24_e32 v22, 0x308, v20                          // 000000002718: 0C2C28FF 00000308
	v_add_u32_e32 v21, v22, v21                                // 000000002720: 682A2B16
	v_lshlrev_b32_e32 v29, 2, v21                              // 000000002724: 243A2A82
	s_mov_b32 m0, s34                                          // 000000002728: BEFC0022
	v_add_u32_e32 v28, 0, v30                                  // 00000000272C: 68383C80
	buffer_load_dword v28, s[16:19], 0 offen lds               // 000000002730: E0511000 8004001C
	buffer_load_dword v28, s[16:19], 0 offen offset:256 lds    // 000000002738: E0511100 8004001C
	buffer_load_dword v28, s[16:19], 0 offen offset:512 lds    // 000000002740: E0511200 8004001C
	s_add_u32 m0, m0, 0x300                                    // 000000002748: 807CFF7C 00000300
	v_add_u32_e32 v28, 0x900, v28                              // 000000002750: 683838FF 00000900
	buffer_load_dword v28, s[16:19], 0 offen lds               // 000000002758: E0511000 8004001C
	buffer_load_dword v28, s[16:19], 0 offen offset:256 lds    // 000000002760: E0511100 8004001C
	buffer_load_dword v28, s[16:19], 0 offen offset:512 lds    // 000000002768: E0511200 8004001C
	s_add_u32 m0, m0, 0x300                                    // 000000002770: 807CFF7C 00000300
	v_add_u32_e32 v28, 0x900, v28                              // 000000002778: 683838FF 00000900
	buffer_load_dword v28, s[16:19], 0 offen lds               // 000000002780: E0511000 8004001C
	buffer_load_dword v28, s[16:19], 0 offen offset:256 lds    // 000000002788: E0511100 8004001C
	buffer_load_dword v28, s[16:19], 0 offen offset:512 lds    // 000000002790: E0511200 8004001C
	s_add_u32 m0, m0, 0x300                                    // 000000002798: 807CFF7C 00000300
	v_add_u32_e32 v28, 0x900, v28                              // 0000000027A0: 683838FF 00000900
	buffer_load_dword v28, s[16:19], 0 offen lds               // 0000000027A8: E0511000 8004001C
	buffer_load_dword v28, s[16:19], 0 offen offset:256 lds    // 0000000027B0: E0511100 8004001C
	buffer_load_dword v28, s[16:19], 0 offen offset:512 lds    // 0000000027B8: E0511200 8004001C
	s_add_u32 m0, m0, 0x300                                    // 0000000027C0: 807CFF7C 00000300
	v_add_u32_e32 v28, 0x900, v28                              // 0000000027C8: 683838FF 00000900
	s_mov_b32 m0, s35                                          // 0000000027D0: BEFC0023
	v_add_u32_e32 v28, 0x2400, v30                             // 0000000027D4: 68383CFF 00002400
	buffer_load_dword v28, s[16:19], 0 offen lds               // 0000000027DC: E0511000 8004001C
	buffer_load_dword v28, s[16:19], 0 offen offset:256 lds    // 0000000027E4: E0511100 8004001C
	buffer_load_dword v28, s[16:19], 0 offen offset:512 lds    // 0000000027EC: E0511200 8004001C
	s_add_u32 m0, m0, 0x300                                    // 0000000027F4: 807CFF7C 00000300
	v_add_u32_e32 v28, 0x900, v28                              // 0000000027FC: 683838FF 00000900
	buffer_load_dword v28, s[16:19], 0 offen lds               // 000000002804: E0511000 8004001C
	buffer_load_dword v28, s[16:19], 0 offen offset:256 lds    // 00000000280C: E0511100 8004001C
	buffer_load_dword v28, s[16:19], 0 offen offset:512 lds    // 000000002814: E0511200 8004001C
	s_add_u32 m0, m0, 0x300                                    // 00000000281C: 807CFF7C 00000300
	v_add_u32_e32 v28, 0x900, v28                              // 000000002824: 683838FF 00000900
	buffer_load_dword v28, s[16:19], 0 offen lds               // 00000000282C: E0511000 8004001C
	buffer_load_dword v28, s[16:19], 0 offen offset:256 lds    // 000000002834: E0511100 8004001C
	buffer_load_dword v28, s[16:19], 0 offen offset:512 lds    // 00000000283C: E0511200 8004001C
	s_add_u32 m0, m0, 0x300                                    // 000000002844: 807CFF7C 00000300
	v_add_u32_e32 v28, 0x900, v28                              // 00000000284C: 683838FF 00000900
	buffer_load_dword v28, s[16:19], 0 offen lds               // 000000002854: E0511000 8004001C
	buffer_load_dword v28, s[16:19], 0 offen offset:256 lds    // 00000000285C: E0511100 8004001C
	buffer_load_dword v28, s[16:19], 0 offen offset:512 lds    // 000000002864: E0511200 8004001C
	s_add_u32 m0, m0, 0x300                                    // 00000000286C: 807CFF7C 00000300
	v_add_u32_e32 v28, 0x900, v28                              // 000000002874: 683838FF 00000900
	s_waitcnt vmcnt(12)                                        // 00000000287C: BF8C0F7C
	s_barrier                                                  // 000000002880: BF8A0000
	s_waitcnt lgkmcnt(0)                                       // 000000002884: BF8CC07F
	s_mov_b32 m0, s36                                          // 000000002888: BEFC0024
	v_add_u32_e32 v28, 0x4800, v30                             // 00000000288C: 68383CFF 00004800
	buffer_load_dword v28, s[16:19], 0 offen lds               // 000000002894: E0511000 8004001C
	buffer_load_dword v28, s[16:19], 0 offen offset:256 lds    // 00000000289C: E0511100 8004001C
	buffer_load_dword v28, s[16:19], 0 offen offset:512 lds    // 0000000028A4: E0511200 8004001C
	s_add_u32 m0, m0, 0x300                                    // 0000000028AC: 807CFF7C 00000300
	v_add_u32_e32 v28, 0x900, v28                              // 0000000028B4: 683838FF 00000900
	buffer_load_dword v28, s[16:19], 0 offen lds               // 0000000028BC: E0511000 8004001C
	buffer_load_dword v28, s[16:19], 0 offen offset:256 lds    // 0000000028C4: E0511100 8004001C
	buffer_load_dword v28, s[16:19], 0 offen offset:512 lds    // 0000000028CC: E0511200 8004001C
	s_add_u32 m0, m0, 0x300                                    // 0000000028D4: 807CFF7C 00000300
	v_add_u32_e32 v28, 0x900, v28                              // 0000000028DC: 683838FF 00000900
	buffer_load_dword v28, s[16:19], 0 offen lds               // 0000000028E4: E0511000 8004001C
	buffer_load_dword v28, s[16:19], 0 offen offset:256 lds    // 0000000028EC: E0511100 8004001C
	buffer_load_dword v28, s[16:19], 0 offen offset:512 lds    // 0000000028F4: E0511200 8004001C
	s_add_u32 m0, m0, 0x300                                    // 0000000028FC: 807CFF7C 00000300
	v_add_u32_e32 v28, 0x900, v28                              // 000000002904: 683838FF 00000900
	buffer_load_dword v28, s[16:19], 0 offen lds               // 00000000290C: E0511000 8004001C
	buffer_load_dword v28, s[16:19], 0 offen offset:256 lds    // 000000002914: E0511100 8004001C
	buffer_load_dword v28, s[16:19], 0 offen offset:512 lds    // 00000000291C: E0511200 8004001C
	s_add_u32 m0, m0, 0x300                                    // 000000002924: 807CFF7C 00000300
	v_add_u32_e32 v28, 0x900, v28                              // 00000000292C: 683838FF 00000900
	s_cmp_eq_i32 s7, 0                                         // 000000002934: BF008007
	s_cbranch_scc0 label_01A2                                  // 000000002938: BF840013
	ds_read_b128 a[0:3], v29                                   // 00000000293C: DBFE0000 0000001D
	ds_read_b128 a[4:7], v29 offset:64                         // 000000002944: DBFE0040 0400001D
	ds_read_b128 a[8:11], v29 offset:128                       // 00000000294C: DBFE0080 0800001D
	ds_read_b128 a[12:15], v29 offset:192                      // 000000002954: DBFE00C0 0C00001D
	ds_read_b128 a[16:19], v29 offset:256                      // 00000000295C: DBFE0100 1000001D
	ds_read_b128 a[20:23], v29 offset:320                      // 000000002964: DBFE0140 1400001D
	ds_read_b128 a[24:27], v29 offset:384                      // 00000000296C: DBFE0180 1800001D
	ds_read_b128 a[28:31], v29 offset:448                      // 000000002974: DBFE01C0 1C00001D
	ds_read_b128 a[32:35], v29 offset:512                      // 00000000297C: DBFE0200 2000001D
	s_waitcnt lgkmcnt(0)                                       // 000000002984: BF8CC07F

0000000000002988 <label_01A2>:
	s_waitcnt vmcnt(12)                                        // 000000002988: BF8C0F7C
	s_barrier                                                  // 00000000298C: BF8A0000
	s_mov_b32 m0, s34                                          // 000000002990: BEFC0022
	v_add_u32_e32 v28, 0x6c00, v30                             // 000000002994: 68383CFF 00006C00
	buffer_load_dword v28, s[16:19], 0 offen lds               // 00000000299C: E0511000 8004001C
	buffer_load_dword v28, s[16:19], 0 offen offset:256 lds    // 0000000029A4: E0511100 8004001C
	buffer_load_dword v28, s[16:19], 0 offen offset:512 lds    // 0000000029AC: E0511200 8004001C
	s_add_u32 m0, m0, 0x300                                    // 0000000029B4: 807CFF7C 00000300
	v_add_u32_e32 v28, 0x900, v28                              // 0000000029BC: 683838FF 00000900
	buffer_load_dword v28, s[16:19], 0 offen lds               // 0000000029C4: E0511000 8004001C
	buffer_load_dword v28, s[16:19], 0 offen offset:256 lds    // 0000000029CC: E0511100 8004001C
	buffer_load_dword v28, s[16:19], 0 offen offset:512 lds    // 0000000029D4: E0511200 8004001C
	s_add_u32 m0, m0, 0x300                                    // 0000000029DC: 807CFF7C 00000300
	v_add_u32_e32 v28, 0x900, v28                              // 0000000029E4: 683838FF 00000900
	buffer_load_dword v28, s[16:19], 0 offen lds               // 0000000029EC: E0511000 8004001C
	buffer_load_dword v28, s[16:19], 0 offen offset:256 lds    // 0000000029F4: E0511100 8004001C
	buffer_load_dword v28, s[16:19], 0 offen offset:512 lds    // 0000000029FC: E0511200 8004001C
	s_add_u32 m0, m0, 0x300                                    // 000000002A04: 807CFF7C 00000300
	v_add_u32_e32 v28, 0x900, v28                              // 000000002A0C: 683838FF 00000900
	buffer_load_dword v28, s[16:19], 0 offen lds               // 000000002A14: E0511000 8004001C
	buffer_load_dword v28, s[16:19], 0 offen offset:256 lds    // 000000002A1C: E0511100 8004001C
	buffer_load_dword v28, s[16:19], 0 offen offset:512 lds    // 000000002A24: E0511200 8004001C
	s_add_u32 m0, m0, 0x300                                    // 000000002A2C: 807CFF7C 00000300
	v_add_u32_e32 v28, 0x900, v28                              // 000000002A34: 683838FF 00000900
	s_cmp_eq_i32 s7, 1                                         // 000000002A3C: BF008107
	s_cbranch_scc0 label_01E4                                  // 000000002A40: BF840013
	ds_read_b128 a[0:3], v29 offset:12416                      // 000000002A44: DBFE3080 0000001D
	ds_read_b128 a[4:7], v29 offset:12480                      // 000000002A4C: DBFE30C0 0400001D
	ds_read_b128 a[8:11], v29 offset:12544                     // 000000002A54: DBFE3100 0800001D
	ds_read_b128 a[12:15], v29 offset:12608                    // 000000002A5C: DBFE3140 0C00001D
	ds_read_b128 a[16:19], v29 offset:12672                    // 000000002A64: DBFE3180 1000001D
	ds_read_b128 a[20:23], v29 offset:12736                    // 000000002A6C: DBFE31C0 1400001D
	ds_read_b128 a[24:27], v29 offset:12800                    // 000000002A74: DBFE3200 1800001D
	ds_read_b128 a[28:31], v29 offset:12864                    // 000000002A7C: DBFE3240 1C00001D
	ds_read_b128 a[32:35], v29 offset:12928                    // 000000002A84: DBFE3280 2000001D
	s_waitcnt lgkmcnt(0)                                       // 000000002A8C: BF8CC07F

0000000000002a90 <label_01E4>:
	s_waitcnt vmcnt(12)                                        // 000000002A90: BF8C0F7C
	s_barrier                                                  // 000000002A94: BF8A0000
	s_mov_b32 m0, s35                                          // 000000002A98: BEFC0023
	v_add_u32_e32 v28, 0x9000, v30                             // 000000002A9C: 68383CFF 00009000
	buffer_load_dword v28, s[16:19], 0 offen lds               // 000000002AA4: E0511000 8004001C
	buffer_load_dword v28, s[16:19], 0 offen offset:256 lds    // 000000002AAC: E0511100 8004001C
	buffer_load_dword v28, s[16:19], 0 offen offset:512 lds    // 000000002AB4: E0511200 8004001C
	s_add_u32 m0, m0, 0x300                                    // 000000002ABC: 807CFF7C 00000300
	v_add_u32_e32 v28, 0x900, v28                              // 000000002AC4: 683838FF 00000900
	buffer_load_dword v28, s[16:19], 0 offen lds               // 000000002ACC: E0511000 8004001C
	buffer_load_dword v28, s[16:19], 0 offen offset:256 lds    // 000000002AD4: E0511100 8004001C
	buffer_load_dword v28, s[16:19], 0 offen offset:512 lds    // 000000002ADC: E0511200 8004001C
	s_add_u32 m0, m0, 0x300                                    // 000000002AE4: 807CFF7C 00000300
	v_add_u32_e32 v28, 0x900, v28                              // 000000002AEC: 683838FF 00000900
	buffer_load_dword v28, s[16:19], 0 offen lds               // 000000002AF4: E0511000 8004001C
	buffer_load_dword v28, s[16:19], 0 offen offset:256 lds    // 000000002AFC: E0511100 8004001C
	buffer_load_dword v28, s[16:19], 0 offen offset:512 lds    // 000000002B04: E0511200 8004001C
	s_add_u32 m0, m0, 0x300                                    // 000000002B0C: 807CFF7C 00000300
	v_add_u32_e32 v28, 0x900, v28                              // 000000002B14: 683838FF 00000900
	buffer_load_dword v28, s[16:19], 0 offen lds               // 000000002B1C: E0511000 8004001C
	buffer_load_dword v28, s[16:19], 0 offen offset:256 lds    // 000000002B24: E0511100 8004001C
	buffer_load_dword v28, s[16:19], 0 offen offset:512 lds    // 000000002B2C: E0511200 8004001C
	s_add_u32 m0, m0, 0x300                                    // 000000002B34: 807CFF7C 00000300
	v_add_u32_e32 v28, 0x900, v28                              // 000000002B3C: 683838FF 00000900
	s_cmp_eq_i32 s7, 2                                         // 000000002B44: BF008207
	s_cbranch_scc0 label_0226                                  // 000000002B48: BF840013
	ds_read_b128 a[0:3], v29 offset:24832                      // 000000002B4C: DBFE6100 0000001D
	ds_read_b128 a[4:7], v29 offset:24896                      // 000000002B54: DBFE6140 0400001D
	ds_read_b128 a[8:11], v29 offset:24960                     // 000000002B5C: DBFE6180 0800001D
	ds_read_b128 a[12:15], v29 offset:25024                    // 000000002B64: DBFE61C0 0C00001D
	ds_read_b128 a[16:19], v29 offset:25088                    // 000000002B6C: DBFE6200 1000001D
	ds_read_b128 a[20:23], v29 offset:25152                    // 000000002B74: DBFE6240 1400001D
	ds_read_b128 a[24:27], v29 offset:25216                    // 000000002B7C: DBFE6280 1800001D
	ds_read_b128 a[28:31], v29 offset:25280                    // 000000002B84: DBFE62C0 1C00001D
	ds_read_b128 a[32:35], v29 offset:25344                    // 000000002B8C: DBFE6300 2000001D
	s_waitcnt lgkmcnt(0)                                       // 000000002B94: BF8CC07F

0000000000002b98 <label_0226>:
	s_waitcnt vmcnt(12)                                        // 000000002B98: BF8C0F7C
	s_barrier                                                  // 000000002B9C: BF8A0000
	s_mov_b32 m0, s36                                          // 000000002BA0: BEFC0024
	v_add_u32_e32 v28, 0xb400, v30                             // 000000002BA4: 68383CFF 0000B400
	buffer_load_dword v28, s[16:19], 0 offen lds               // 000000002BAC: E0511000 8004001C
	buffer_load_dword v28, s[16:19], 0 offen offset:256 lds    // 000000002BB4: E0511100 8004001C
	buffer_load_dword v28, s[16:19], 0 offen offset:512 lds    // 000000002BBC: E0511200 8004001C
	s_add_u32 m0, m0, 0x300                                    // 000000002BC4: 807CFF7C 00000300
	v_add_u32_e32 v28, 0x900, v28                              // 000000002BCC: 683838FF 00000900
	buffer_load_dword v28, s[16:19], 0 offen lds               // 000000002BD4: E0511000 8004001C
	buffer_load_dword v28, s[16:19], 0 offen offset:256 lds    // 000000002BDC: E0511100 8004001C
	buffer_load_dword v28, s[16:19], 0 offen offset:512 lds    // 000000002BE4: E0511200 8004001C
	s_add_u32 m0, m0, 0x300                                    // 000000002BEC: 807CFF7C 00000300
	v_add_u32_e32 v28, 0x900, v28                              // 000000002BF4: 683838FF 00000900
	buffer_load_dword v28, s[16:19], 0 offen lds               // 000000002BFC: E0511000 8004001C
	buffer_load_dword v28, s[16:19], 0 offen offset:256 lds    // 000000002C04: E0511100 8004001C
	buffer_load_dword v28, s[16:19], 0 offen offset:512 lds    // 000000002C0C: E0511200 8004001C
	s_add_u32 m0, m0, 0x300                                    // 000000002C14: 807CFF7C 00000300
	v_add_u32_e32 v28, 0x900, v28                              // 000000002C1C: 683838FF 00000900
	buffer_load_dword v28, s[16:19], 0 offen lds               // 000000002C24: E0511000 8004001C
	buffer_load_dword v28, s[16:19], 0 offen offset:256 lds    // 000000002C2C: E0511100 8004001C
	buffer_load_dword v28, s[16:19], 0 offen offset:512 lds    // 000000002C34: E0511200 8004001C
	s_add_u32 m0, m0, 0x300                                    // 000000002C3C: 807CFF7C 00000300
	v_add_u32_e32 v28, 0x900, v28                              // 000000002C44: 683838FF 00000900
	s_cmp_eq_i32 s7, 3                                         // 000000002C4C: BF008307
	s_cbranch_scc0 label_0268                                  // 000000002C50: BF840013
	ds_read_b128 a[0:3], v29                                   // 000000002C54: DBFE0000 0000001D
	ds_read_b128 a[4:7], v29 offset:64                         // 000000002C5C: DBFE0040 0400001D
	ds_read_b128 a[8:11], v29 offset:128                       // 000000002C64: DBFE0080 0800001D
	ds_read_b128 a[12:15], v29 offset:192                      // 000000002C6C: DBFE00C0 0C00001D
	ds_read_b128 a[16:19], v29 offset:256                      // 000000002C74: DBFE0100 1000001D
	ds_read_b128 a[20:23], v29 offset:320                      // 000000002C7C: DBFE0140 1400001D
	ds_read_b128 a[24:27], v29 offset:384                      // 000000002C84: DBFE0180 1800001D
	ds_read_b128 a[28:31], v29 offset:448                      // 000000002C8C: DBFE01C0 1C00001D
	ds_read_b128 a[32:35], v29 offset:512                      // 000000002C94: DBFE0200 2000001D
	s_waitcnt lgkmcnt(0)                                       // 000000002C9C: BF8CC07F

0000000000002ca0 <label_0268>:
	s_waitcnt vmcnt(12)                                        // 000000002CA0: BF8C0F7C
	s_barrier                                                  // 000000002CA4: BF8A0000
	s_mov_b32 m0, s34                                          // 000000002CA8: BEFC0022
	v_add_u32_e32 v28, 0xd800, v30                             // 000000002CAC: 68383CFF 0000D800
	buffer_load_dword v28, s[16:19], 0 offen lds               // 000000002CB4: E0511000 8004001C
	buffer_load_dword v28, s[16:19], 0 offen offset:256 lds    // 000000002CBC: E0511100 8004001C
	buffer_load_dword v28, s[16:19], 0 offen offset:512 lds    // 000000002CC4: E0511200 8004001C
	s_add_u32 m0, m0, 0x300                                    // 000000002CCC: 807CFF7C 00000300
	v_add_u32_e32 v28, 0x900, v28                              // 000000002CD4: 683838FF 00000900
	buffer_load_dword v28, s[16:19], 0 offen lds               // 000000002CDC: E0511000 8004001C
	buffer_load_dword v28, s[16:19], 0 offen offset:256 lds    // 000000002CE4: E0511100 8004001C
	buffer_load_dword v28, s[16:19], 0 offen offset:512 lds    // 000000002CEC: E0511200 8004001C
	s_add_u32 m0, m0, 0x300                                    // 000000002CF4: 807CFF7C 00000300
	v_add_u32_e32 v28, 0x900, v28                              // 000000002CFC: 683838FF 00000900
	buffer_load_dword v28, s[16:19], 0 offen lds               // 000000002D04: E0511000 8004001C
	buffer_load_dword v28, s[16:19], 0 offen offset:256 lds    // 000000002D0C: E0511100 8004001C
	buffer_load_dword v28, s[16:19], 0 offen offset:512 lds    // 000000002D14: E0511200 8004001C
	s_add_u32 m0, m0, 0x300                                    // 000000002D1C: 807CFF7C 00000300
	v_add_u32_e32 v28, 0x900, v28                              // 000000002D24: 683838FF 00000900
	buffer_load_dword v28, s[16:19], 0 offen lds               // 000000002D2C: E0511000 8004001C
	buffer_load_dword v28, s[16:19], 0 offen offset:256 lds    // 000000002D34: E0511100 8004001C
	buffer_load_dword v28, s[16:19], 0 offen offset:512 lds    // 000000002D3C: E0511200 8004001C
	s_add_u32 m0, m0, 0x300                                    // 000000002D44: 807CFF7C 00000300
	v_add_u32_e32 v28, 0x900, v28                              // 000000002D4C: 683838FF 00000900
	s_cmp_eq_i32 s7, 0                                         // 000000002D54: BF008007
	s_cbranch_scc0 label_02AA                                  // 000000002D58: BF840013
	ds_read_b128 a[36:39], v29 offset:12416                    // 000000002D5C: DBFE3080 2400001D
	ds_read_b128 a[40:43], v29 offset:12480                    // 000000002D64: DBFE30C0 2800001D
	ds_read_b128 a[44:47], v29 offset:12544                    // 000000002D6C: DBFE3100 2C00001D
	ds_read_b128 a[48:51], v29 offset:12608                    // 000000002D74: DBFE3140 3000001D
	ds_read_b128 a[52:55], v29 offset:12672                    // 000000002D7C: DBFE3180 3400001D
	ds_read_b128 a[56:59], v29 offset:12736                    // 000000002D84: DBFE31C0 3800001D
	ds_read_b128 a[60:63], v29 offset:12800                    // 000000002D8C: DBFE3200 3C00001D
	ds_read_b128 a[64:67], v29 offset:12864                    // 000000002D94: DBFE3240 4000001D
	ds_read_b128 a[68:71], v29 offset:12928                    // 000000002D9C: DBFE3280 4400001D
	s_waitcnt lgkmcnt(0)                                       // 000000002DA4: BF8CC07F

0000000000002da8 <label_02AA>:
	s_waitcnt vmcnt(12)                                        // 000000002DA8: BF8C0F7C
	s_barrier                                                  // 000000002DAC: BF8A0000
	s_mov_b32 m0, s35                                          // 000000002DB0: BEFC0023
	v_add_u32_e32 v28, 0xfc00, v30                             // 000000002DB4: 68383CFF 0000FC00
	buffer_load_dword v28, s[16:19], 0 offen lds               // 000000002DBC: E0511000 8004001C
	buffer_load_dword v28, s[16:19], 0 offen offset:256 lds    // 000000002DC4: E0511100 8004001C
	buffer_load_dword v28, s[16:19], 0 offen offset:512 lds    // 000000002DCC: E0511200 8004001C
	s_add_u32 m0, m0, 0x300                                    // 000000002DD4: 807CFF7C 00000300
	v_add_u32_e32 v28, 0x900, v28                              // 000000002DDC: 683838FF 00000900
	buffer_load_dword v28, s[16:19], 0 offen lds               // 000000002DE4: E0511000 8004001C
	buffer_load_dword v28, s[16:19], 0 offen offset:256 lds    // 000000002DEC: E0511100 8004001C
	buffer_load_dword v28, s[16:19], 0 offen offset:512 lds    // 000000002DF4: E0511200 8004001C
	s_add_u32 m0, m0, 0x300                                    // 000000002DFC: 807CFF7C 00000300
	v_add_u32_e32 v28, 0x900, v28                              // 000000002E04: 683838FF 00000900
	buffer_load_dword v28, s[16:19], 0 offen lds               // 000000002E0C: E0511000 8004001C
	buffer_load_dword v28, s[16:19], 0 offen offset:256 lds    // 000000002E14: E0511100 8004001C
	buffer_load_dword v28, s[16:19], 0 offen offset:512 lds    // 000000002E1C: E0511200 8004001C
	s_add_u32 m0, m0, 0x300                                    // 000000002E24: 807CFF7C 00000300
	v_add_u32_e32 v28, 0x900, v28                              // 000000002E2C: 683838FF 00000900
	buffer_load_dword v28, s[16:19], 0 offen lds               // 000000002E34: E0511000 8004001C
	buffer_load_dword v28, s[16:19], 0 offen offset:256 lds    // 000000002E3C: E0511100 8004001C
	buffer_load_dword v28, s[16:19], 0 offen offset:512 lds    // 000000002E44: E0511200 8004001C
	s_add_u32 m0, m0, 0x300                                    // 000000002E4C: 807CFF7C 00000300
	v_add_u32_e32 v28, 0x900, v28                              // 000000002E54: 683838FF 00000900
	s_cmp_eq_i32 s7, 1                                         // 000000002E5C: BF008107
	s_cbranch_scc0 label_02EC                                  // 000000002E60: BF840013
	ds_read_b128 a[36:39], v29 offset:24832                    // 000000002E64: DBFE6100 2400001D
	ds_read_b128 a[40:43], v29 offset:24896                    // 000000002E6C: DBFE6140 2800001D
	ds_read_b128 a[44:47], v29 offset:24960                    // 000000002E74: DBFE6180 2C00001D
	ds_read_b128 a[48:51], v29 offset:25024                    // 000000002E7C: DBFE61C0 3000001D
	ds_read_b128 a[52:55], v29 offset:25088                    // 000000002E84: DBFE6200 3400001D
	ds_read_b128 a[56:59], v29 offset:25152                    // 000000002E8C: DBFE6240 3800001D
	ds_read_b128 a[60:63], v29 offset:25216                    // 000000002E94: DBFE6280 3C00001D
	ds_read_b128 a[64:67], v29 offset:25280                    // 000000002E9C: DBFE62C0 4000001D
	ds_read_b128 a[68:71], v29 offset:25344                    // 000000002EA4: DBFE6300 4400001D
	s_waitcnt lgkmcnt(0)                                       // 000000002EAC: BF8CC07F

0000000000002eb0 <label_02EC>:
	s_waitcnt vmcnt(12)                                        // 000000002EB0: BF8C0F7C
	s_barrier                                                  // 000000002EB4: BF8A0000
	s_cmp_eq_i32 s7, 2                                         // 000000002EB8: BF008207
	s_cbranch_scc0 label_0303                                  // 000000002EBC: BF840013
	ds_read_b128 a[36:39], v29                                 // 000000002EC0: DBFE0000 2400001D
	ds_read_b128 a[40:43], v29 offset:64                       // 000000002EC8: DBFE0040 2800001D
	ds_read_b128 a[44:47], v29 offset:128                      // 000000002ED0: DBFE0080 2C00001D
	ds_read_b128 a[48:51], v29 offset:192                      // 000000002ED8: DBFE00C0 3000001D
	ds_read_b128 a[52:55], v29 offset:256                      // 000000002EE0: DBFE0100 3400001D
	ds_read_b128 a[56:59], v29 offset:320                      // 000000002EE8: DBFE0140 3800001D
	ds_read_b128 a[60:63], v29 offset:384                      // 000000002EF0: DBFE0180 3C00001D
	ds_read_b128 a[64:67], v29 offset:448                      // 000000002EF8: DBFE01C0 4000001D
	ds_read_b128 a[68:71], v29 offset:512                      // 000000002F00: DBFE0200 4400001D
	s_waitcnt lgkmcnt(0)                                       // 000000002F08: BF8CC07F

0000000000002f0c <label_0303>:
	s_waitcnt vmcnt(0)                                         // 000000002F0C: BF8C0F70
	s_barrier                                                  // 000000002F10: BF8A0000
	s_cmp_eq_i32 s7, 3                                         // 000000002F14: BF008307
	s_cbranch_scc0 label_031A                                  // 000000002F18: BF840013
	ds_read_b128 a[36:39], v29 offset:12416                    // 000000002F1C: DBFE3080 2400001D
	ds_read_b128 a[40:43], v29 offset:12480                    // 000000002F24: DBFE30C0 2800001D
	ds_read_b128 a[44:47], v29 offset:12544                    // 000000002F2C: DBFE3100 2C00001D
	ds_read_b128 a[48:51], v29 offset:12608                    // 000000002F34: DBFE3140 3000001D
	ds_read_b128 a[52:55], v29 offset:12672                    // 000000002F3C: DBFE3180 3400001D
	ds_read_b128 a[56:59], v29 offset:12736                    // 000000002F44: DBFE31C0 3800001D
	ds_read_b128 a[60:63], v29 offset:12800                    // 000000002F4C: DBFE3200 3C00001D
	ds_read_b128 a[64:67], v29 offset:12864                    // 000000002F54: DBFE3240 4000001D
	ds_read_b128 a[68:71], v29 offset:12928                    // 000000002F5C: DBFE3280 4400001D
	s_waitcnt lgkmcnt(0)                                       // 000000002F64: BF8CC07F

0000000000002f68 <label_031A>:
	s_waitcnt vmcnt(0)                                         // 000000002F68: BF8C0F70
	s_barrier                                                  // 000000002F6C: BF8A0000
	s_mov_b32 s51, 0x7060302                                   // 000000002F70: BEB300FF 07060302
	s_mov_b32 s52, 0x6020400                                   // 000000002F78: BEB400FF 06020400
	s_mov_b32 s53, 0x7030501                                   // 000000002F80: BEB500FF 07030501
	s_mov_b32 s54, 0x5010400                                   // 000000002F88: BEB600FF 05010400
	s_mov_b32 s55, 0x7030602                                   // 000000002F90: BEB700FF 07030602
	s_mov_b32 s6, 0x3fb8aa3b                                   // 000000002F98: BE8600FF 3FB8AA3B
	v_mov_b32_e32 v21, s6                                      // 000000002FA0: 7E2A0206
	v_mov_b32_e32 v20, s64                                     // 000000002FA4: 7E280240
	v_mul_f32_e32 v20, s6, v20                                 // 000000002FA8: 0A282806
	v_rcp_f32_e32 v21, v21                                     // 000000002FAC: 7E2A4515
	v_mov_b32_e32 v12, 0xff7fffff                              // 000000002FB0: 7E1802FF FF7FFFFF
	v_mov_b32_e32 v13, 0xff7fffff                              // 000000002FB8: 7E1A02FF FF7FFFFF
	v_mov_b32_e32 v16, 0                                       // 000000002FC0: 7E200280
	v_mov_b32_e32 v17, 0                                       // 000000002FC4: 7E220280
	v_mov_b32_e32 v14, 0                                       // 000000002FC8: 7E1C0280
	v_mov_b32_e32 v15, 0                                       // 000000002FCC: 7E1E0280
	v_mov_b32_e32 v9, s68                                      // 000000002FD0: 7E120244
	v_readfirstlane_b32 s5, v20                                // 000000002FD4: 7E0A0514
	v_readfirstlane_b32 s63, v21                               // 000000002FD8: 7E7E0515
	v_mov_b32_e32 v20, s42                                     // 000000002FDC: 7E28022A
	v_mul_f32_e32 v20, s43, v20                                // 000000002FE0: 0A28282B
	v_mul_f32_e32 v21, s5, v20                                 // 000000002FE4: 0A2A2805
	v_mul_f32_e32 v23, s64, v20                                // 000000002FE8: 0A2E2840
	v_readfirstlane_b32 s5, v21                                // 000000002FEC: 7E0A0515
	v_readfirstlane_b32 s64, v23                               // 000000002FF0: 7E800517
	v_and_b32_e32 v2, 15, v0                                   // 000000002FF4: 2604008F
	v_lshlrev_b32_e32 v2, 2, v2                                // 000000002FF8: 24040482
	s_mul_i32 s56, 0x100, s7                                   // 000000002FFC: 923807FF 00000100
	v_add_u32_e32 v2, s56, v2                                  // 000000003004: 68040438
	v_lshlrev_b32_e32 v3, 2, v0                                // 000000003008: 24060082
	s_mul_i32 s56, 0x100, s7                                   // 00000000300C: 923807FF 00000100
	v_add_u32_e32 v3, s56, v3                                  // 000000003014: 68060638
	v_and_b32_e32 v20, 15, v0                                  // 000000003018: 2628008F
	v_lshlrev_b32_e32 v1, 2, v20                               // 00000000301C: 24022882
	s_mul_i32 s34, s7, 0x1220                                  // 000000003020: 9222FF07 00001220
	s_add_u32 s34, 0, s34                                      // 000000003028: 80222280
	s_add_u32 s35, 0x900, s34                                  // 00000000302C: 802322FF 00000900
	s_add_u32 s36, 0x4880, s34                                 // 000000003034: 802422FF 00004880
	s_add_u32 s37, 0x4880, s35                                 // 00000000303C: 802523FF 00004880
	s_waitcnt vmcnt(0)                                         // 000000003044: BF8C0F70
	v_mul_u32_u24_dpp v18, v10, v9 row_newbcast:0 row_mask:0xf bank_mask:0xf// 000000003048: 102412FA FF01500A
	v_mul_u32_u24_dpp v19, v10, v9 row_newbcast:8 row_mask:0xf bank_mask:0xf// 000000003050: 102612FA FF01580A
	v_add_u32_e32 v18, v18, v1                                 // 000000003058: 68240312
	v_add_u32_e32 v19, v19, v1                                 // 00000000305C: 68260313
	s_mov_b32 m0, s34                                          // 000000003060: BEFC0022
	buffer_load_dword v18, s[20:23], 0 offen lds               // 000000003064: E0511000 80050012
	s_add_u32 m0, 0, s35                                       // 00000000306C: 807C2380
	buffer_load_dword v19, s[20:23], 0 offen lds               // 000000003070: E0511000 80050013
	s_add_u32 m0, 0xc0, s34                                    // 000000003078: 807C22FF 000000C0
	buffer_load_dword v18, s[20:23], 0 offen offset:64 lds     // 000000003080: E0511040 80050012
	s_add_u32 m0, 0xc0, s35                                    // 000000003088: 807C23FF 000000C0
	buffer_load_dword v19, s[20:23], 0 offen offset:64 lds     // 000000003090: E0511040 80050013
	s_add_u32 m0, 0x180, s34                                   // 000000003098: 807C22FF 00000180
	buffer_load_dword v18, s[20:23], 0 offen offset:128 lds    // 0000000030A0: E0511080 80050012
	s_add_u32 m0, 0x180, s35                                   // 0000000030A8: 807C23FF 00000180
	buffer_load_dword v19, s[20:23], 0 offen offset:128 lds    // 0000000030B0: E0511080 80050013
	s_add_u32 m0, 0x240, s34                                   // 0000000030B8: 807C22FF 00000240
	buffer_load_dword v18, s[20:23], 0 offen offset:192 lds    // 0000000030C0: E05110C0 80050012
	s_add_u32 m0, 0x240, s35                                   // 0000000030C8: 807C23FF 00000240
	buffer_load_dword v19, s[20:23], 0 offen offset:192 lds    // 0000000030D0: E05110C0 80050013
	s_add_u32 m0, 0x300, s34                                   // 0000000030D8: 807C22FF 00000300
	buffer_load_dword v18, s[20:23], 0 offen offset:256 lds    // 0000000030E0: E0511100 80050012
	s_add_u32 m0, 0x300, s35                                   // 0000000030E8: 807C23FF 00000300
	buffer_load_dword v19, s[20:23], 0 offen offset:256 lds    // 0000000030F0: E0511100 80050013
	s_add_u32 m0, 0x3c0, s34                                   // 0000000030F8: 807C22FF 000003C0
	buffer_load_dword v18, s[20:23], 0 offen offset:320 lds    // 000000003100: E0511140 80050012
	s_add_u32 m0, 0x3c0, s35                                   // 000000003108: 807C23FF 000003C0
	buffer_load_dword v19, s[20:23], 0 offen offset:320 lds    // 000000003110: E0511140 80050013
	s_add_u32 m0, 0x480, s34                                   // 000000003118: 807C22FF 00000480
	buffer_load_dword v18, s[20:23], 0 offen offset:384 lds    // 000000003120: E0511180 80050012
	s_add_u32 m0, 0x480, s35                                   // 000000003128: 807C23FF 00000480
	buffer_load_dword v19, s[20:23], 0 offen offset:384 lds    // 000000003130: E0511180 80050013
	s_add_u32 m0, 0x540, s34                                   // 000000003138: 807C22FF 00000540
	buffer_load_dword v18, s[20:23], 0 offen offset:448 lds    // 000000003140: E05111C0 80050012
	s_add_u32 m0, 0x540, s35                                   // 000000003148: 807C23FF 00000540
	buffer_load_dword v19, s[20:23], 0 offen offset:448 lds    // 000000003150: E05111C0 80050013
	s_add_u32 m0, 0x600, s34                                   // 000000003158: 807C22FF 00000600
	buffer_load_dword v18, s[20:23], 0 offen offset:512 lds    // 000000003160: E0511200 80050012
	s_add_u32 m0, 0x600, s35                                   // 000000003168: 807C23FF 00000600
	buffer_load_dword v19, s[20:23], 0 offen offset:512 lds    // 000000003170: E0511200 80050013
	s_add_u32 m0, 0x6c0, s34                                   // 000000003178: 807C22FF 000006C0
	buffer_load_dword v10, v8, s[24:27], 0 offen               // 000000003180: E0501000 80060A08
	v_add_u32_e32 v8, s73, v8                                  // 000000003188: 68101049
	v_mov_b32_e32 v56, 0                                       // 00000000318C: 7E700280
	v_mov_b32_e32 v57, 0                                       // 000000003190: 7E720280
	v_mov_b32_e32 v58, 0                                       // 000000003194: 7E740280
	v_mov_b32_e32 v59, 0                                       // 000000003198: 7E760280
	v_mov_b32_e32 v60, 0                                       // 00000000319C: 7E780280
	v_mov_b32_e32 v61, 0                                       // 0000000031A0: 7E7A0280
	v_mov_b32_e32 v62, 0                                       // 0000000031A4: 7E7C0280
	v_mov_b32_e32 v63, 0                                       // 0000000031A8: 7E7E0280
	v_mov_b32_e32 v64, 0                                       // 0000000031AC: 7E800280
	v_mov_b32_e32 v65, 0                                       // 0000000031B0: 7E820280
	v_mov_b32_e32 v66, 0                                       // 0000000031B4: 7E840280
	v_mov_b32_e32 v67, 0                                       // 0000000031B8: 7E860280
	v_mov_b32_e32 v68, 0                                       // 0000000031BC: 7E880280
	v_mov_b32_e32 v69, 0                                       // 0000000031C0: 7E8A0280
	v_mov_b32_e32 v70, 0                                       // 0000000031C4: 7E8C0280
	v_mov_b32_e32 v71, 0                                       // 0000000031C8: 7E8E0280
	v_mov_b32_e32 v72, 0                                       // 0000000031CC: 7E900280
	v_mov_b32_e32 v73, 0                                       // 0000000031D0: 7E920280
	v_mov_b32_e32 v74, 0                                       // 0000000031D4: 7E940280
	v_mov_b32_e32 v75, 0                                       // 0000000031D8: 7E960280
	v_mov_b32_e32 v76, 0                                       // 0000000031DC: 7E980280
	v_mov_b32_e32 v77, 0                                       // 0000000031E0: 7E9A0280
	v_mov_b32_e32 v78, 0                                       // 0000000031E4: 7E9C0280
	v_mov_b32_e32 v79, 0                                       // 0000000031E8: 7E9E0280
	v_mov_b32_e32 v80, 0                                       // 0000000031EC: 7EA00280
	v_mov_b32_e32 v81, 0                                       // 0000000031F0: 7EA20280
	v_mov_b32_e32 v82, 0                                       // 0000000031F4: 7EA40280
	v_mov_b32_e32 v83, 0                                       // 0000000031F8: 7EA60280
	v_mov_b32_e32 v84, 0                                       // 0000000031FC: 7EA80280
	v_mov_b32_e32 v85, 0                                       // 000000003200: 7EAA0280
	v_mov_b32_e32 v86, 0                                       // 000000003204: 7EAC0280
	v_mov_b32_e32 v87, 0                                       // 000000003208: 7EAE0280
	v_mov_b32_e32 v88, 0                                       // 00000000320C: 7EB00280
	v_mov_b32_e32 v89, 0                                       // 000000003210: 7EB20280
	v_mov_b32_e32 v90, 0                                       // 000000003214: 7EB40280
	v_mov_b32_e32 v91, 0                                       // 000000003218: 7EB60280
	v_mov_b32_e32 v92, 0                                       // 00000000321C: 7EB80280
	v_mov_b32_e32 v93, 0                                       // 000000003220: 7EBA0280
	v_mov_b32_e32 v94, 0                                       // 000000003224: 7EBC0280
	v_mov_b32_e32 v95, 0                                       // 000000003228: 7EBE0280
	v_mov_b32_e32 v96, 0                                       // 00000000322C: 7EC00280
	v_mov_b32_e32 v97, 0                                       // 000000003230: 7EC20280
	v_mov_b32_e32 v98, 0                                       // 000000003234: 7EC40280
	v_mov_b32_e32 v99, 0                                       // 000000003238: 7EC60280
	v_mov_b32_e32 v100, 0                                      // 00000000323C: 7EC80280
	v_mov_b32_e32 v101, 0                                      // 000000003240: 7ECA0280
	v_mov_b32_e32 v102, 0                                      // 000000003244: 7ECC0280
	v_mov_b32_e32 v103, 0                                      // 000000003248: 7ECE0280
	v_mov_b32_e32 v104, 0                                      // 00000000324C: 7ED00280
	v_mov_b32_e32 v105, 0                                      // 000000003250: 7ED20280
	v_mov_b32_e32 v106, 0                                      // 000000003254: 7ED40280
	v_mov_b32_e32 v107, 0                                      // 000000003258: 7ED60280
	v_mov_b32_e32 v108, 0                                      // 00000000325C: 7ED80280
	v_mov_b32_e32 v109, 0                                      // 000000003260: 7EDA0280
	v_mov_b32_e32 v110, 0                                      // 000000003264: 7EDC0280
	v_mov_b32_e32 v111, 0                                      // 000000003268: 7EDE0280
	v_mov_b32_e32 v112, 0                                      // 00000000326C: 7EE00280
	v_mov_b32_e32 v113, 0                                      // 000000003270: 7EE20280
	v_mov_b32_e32 v114, 0                                      // 000000003274: 7EE40280
	v_mov_b32_e32 v115, 0                                      // 000000003278: 7EE60280
	v_mov_b32_e32 v116, 0                                      // 00000000327C: 7EE80280
	v_mov_b32_e32 v117, 0                                      // 000000003280: 7EEA0280
	v_mov_b32_e32 v118, 0                                      // 000000003284: 7EEC0280
	v_mov_b32_e32 v119, 0                                      // 000000003288: 7EEE0280
	v_mov_b32_e32 v120, 0                                      // 00000000328C: 7EF00280
	v_mov_b32_e32 v121, 0                                      // 000000003290: 7EF20280
	v_mov_b32_e32 v122, 0                                      // 000000003294: 7EF40280
	v_mov_b32_e32 v123, 0                                      // 000000003298: 7EF60280
	v_mov_b32_e32 v124, 0                                      // 00000000329C: 7EF80280
	v_mov_b32_e32 v125, 0                                      // 0000000032A0: 7EFA0280
	v_mov_b32_e32 v126, 0                                      // 0000000032A4: 7EFC0280
	v_mov_b32_e32 v127, 0                                      // 0000000032A8: 7EFE0280
	v_mov_b32_e32 v128, 0                                      // 0000000032AC: 7F000280
	v_mov_b32_e32 v129, 0                                      // 0000000032B0: 7F020280
	v_mov_b32_e32 v130, 0                                      // 0000000032B4: 7F040280
	v_mov_b32_e32 v131, 0                                      // 0000000032B8: 7F060280
	v_mov_b32_e32 v132, 0                                      // 0000000032BC: 7F080280
	v_mov_b32_e32 v133, 0                                      // 0000000032C0: 7F0A0280
	v_mov_b32_e32 v134, 0                                      // 0000000032C4: 7F0C0280
	v_mov_b32_e32 v135, 0                                      // 0000000032C8: 7F0E0280
	v_mov_b32_e32 v136, 0                                      // 0000000032CC: 7F100280
	v_mov_b32_e32 v137, 0                                      // 0000000032D0: 7F120280
	v_mov_b32_e32 v138, 0                                      // 0000000032D4: 7F140280
	v_mov_b32_e32 v139, 0                                      // 0000000032D8: 7F160280
	v_mov_b32_e32 v140, 0                                      // 0000000032DC: 7F180280
	v_mov_b32_e32 v141, 0                                      // 0000000032E0: 7F1A0280
	v_mov_b32_e32 v142, 0                                      // 0000000032E4: 7F1C0280
	v_mov_b32_e32 v143, 0                                      // 0000000032E8: 7F1E0280
	v_mov_b32_e32 v144, 0                                      // 0000000032EC: 7F200280
	v_mov_b32_e32 v145, 0                                      // 0000000032F0: 7F220280
	v_mov_b32_e32 v146, 0                                      // 0000000032F4: 7F240280
	v_mov_b32_e32 v147, 0                                      // 0000000032F8: 7F260280
	v_mov_b32_e32 v148, 0                                      // 0000000032FC: 7F280280
	v_mov_b32_e32 v149, 0                                      // 000000003300: 7F2A0280
	v_mov_b32_e32 v150, 0                                      // 000000003304: 7F2C0280
	v_mov_b32_e32 v151, 0                                      // 000000003308: 7F2E0280
	v_mov_b32_e32 v152, 0                                      // 00000000330C: 7F300280
	v_mov_b32_e32 v153, 0                                      // 000000003310: 7F320280
	v_mov_b32_e32 v154, 0                                      // 000000003314: 7F340280
	v_mov_b32_e32 v155, 0                                      // 000000003318: 7F360280
	v_mov_b32_e32 v156, 0                                      // 00000000331C: 7F380280
	v_mov_b32_e32 v157, 0                                      // 000000003320: 7F3A0280
	v_mov_b32_e32 v158, 0                                      // 000000003324: 7F3C0280
	v_mov_b32_e32 v159, 0                                      // 000000003328: 7F3E0280
	v_mov_b32_e32 v160, 0                                      // 00000000332C: 7F400280
	v_mov_b32_e32 v161, 0                                      // 000000003330: 7F420280
	v_mov_b32_e32 v162, 0                                      // 000000003334: 7F440280
	v_mov_b32_e32 v163, 0                                      // 000000003338: 7F460280
	v_mov_b32_e32 v164, 0                                      // 00000000333C: 7F480280
	v_mov_b32_e32 v165, 0                                      // 000000003340: 7F4A0280
	v_mov_b32_e32 v166, 0                                      // 000000003344: 7F4C0280
	v_mov_b32_e32 v167, 0                                      // 000000003348: 7F4E0280
	v_mov_b32_e32 v168, 0                                      // 00000000334C: 7F500280
	v_mov_b32_e32 v169, 0                                      // 000000003350: 7F520280
	v_mov_b32_e32 v170, 0                                      // 000000003354: 7F540280
	v_mov_b32_e32 v171, 0                                      // 000000003358: 7F560280
	v_mov_b32_e32 v172, 0                                      // 00000000335C: 7F580280
	v_mov_b32_e32 v173, 0                                      // 000000003360: 7F5A0280
	v_mov_b32_e32 v174, 0                                      // 000000003364: 7F5C0280
	v_mov_b32_e32 v175, 0                                      // 000000003368: 7F5E0280
	v_mov_b32_e32 v176, 0                                      // 00000000336C: 7F600280
	v_mov_b32_e32 v177, 0                                      // 000000003370: 7F620280
	v_mov_b32_e32 v178, 0                                      // 000000003374: 7F640280
	v_mov_b32_e32 v179, 0                                      // 000000003378: 7F660280
	v_mov_b32_e32 v180, 0                                      // 00000000337C: 7F680280
	v_mov_b32_e32 v181, 0                                      // 000000003380: 7F6A0280
	v_mov_b32_e32 v182, 0                                      // 000000003384: 7F6C0280
	v_mov_b32_e32 v183, 0                                      // 000000003388: 7F6E0280
	v_mov_b32_e32 v184, 0                                      // 00000000338C: 7F700280
	v_mov_b32_e32 v185, 0                                      // 000000003390: 7F720280
	v_mov_b32_e32 v186, 0                                      // 000000003394: 7F740280
	v_mov_b32_e32 v187, 0                                      // 000000003398: 7F760280
	v_mov_b32_e32 v188, 0                                      // 00000000339C: 7F780280
	v_mov_b32_e32 v189, 0                                      // 0000000033A0: 7F7A0280
	v_mov_b32_e32 v190, 0                                      // 0000000033A4: 7F7C0280
	v_mov_b32_e32 v191, 0                                      // 0000000033A8: 7F7E0280
	v_mov_b32_e32 v192, 0                                      // 0000000033AC: 7F800280
	v_mov_b32_e32 v193, 0                                      // 0000000033B0: 7F820280
	v_mov_b32_e32 v194, 0                                      // 0000000033B4: 7F840280
	v_mov_b32_e32 v195, 0                                      // 0000000033B8: 7F860280
	v_mov_b32_e32 v196, 0                                      // 0000000033BC: 7F880280
	v_mov_b32_e32 v197, 0                                      // 0000000033C0: 7F8A0280
	v_mov_b32_e32 v198, 0                                      // 0000000033C4: 7F8C0280
	v_mov_b32_e32 v199, 0                                      // 0000000033C8: 7F8E0280
	v_mov_b32_e32 v200, 0                                      // 0000000033CC: 7F900280
	v_mov_b32_e32 v201, 0                                      // 0000000033D0: 7F920280
	v_mov_b32_e32 v202, 0                                      // 0000000033D4: 7F940280
	v_mov_b32_e32 v203, 0                                      // 0000000033D8: 7F960280
	v_mov_b32_e32 v204, 0                                      // 0000000033DC: 7F980280
	v_mov_b32_e32 v205, 0                                      // 0000000033E0: 7F9A0280
	v_mov_b32_e32 v206, 0                                      // 0000000033E4: 7F9C0280
	v_mov_b32_e32 v207, 0                                      // 0000000033E8: 7F9E0280
	v_mov_b32_e32 v208, 0                                      // 0000000033EC: 7FA00280
	v_mov_b32_e32 v209, 0                                      // 0000000033F0: 7FA20280
	v_mov_b32_e32 v210, 0                                      // 0000000033F4: 7FA40280
	v_mov_b32_e32 v211, 0                                      // 0000000033F8: 7FA60280
	v_mov_b32_e32 v212, 0                                      // 0000000033FC: 7FA80280
	v_mov_b32_e32 v213, 0                                      // 000000003400: 7FAA0280
	v_mov_b32_e32 v214, 0                                      // 000000003404: 7FAC0280
	v_mov_b32_e32 v215, 0                                      // 000000003408: 7FAE0280
	v_mov_b32_e32 v216, 0                                      // 00000000340C: 7FB00280
	v_mov_b32_e32 v217, 0                                      // 000000003410: 7FB20280
	v_mov_b32_e32 v218, 0                                      // 000000003414: 7FB40280
	v_mov_b32_e32 v219, 0                                      // 000000003418: 7FB60280
	v_mov_b32_e32 v220, 0                                      // 00000000341C: 7FB80280
	v_mov_b32_e32 v221, 0                                      // 000000003420: 7FBA0280
	v_mov_b32_e32 v222, 0                                      // 000000003424: 7FBC0280
	v_mov_b32_e32 v223, 0                                      // 000000003428: 7FBE0280
	v_mov_b32_e32 v224, 0                                      // 00000000342C: 7FC00280
	v_mov_b32_e32 v225, 0                                      // 000000003430: 7FC20280
	v_mov_b32_e32 v226, 0                                      // 000000003434: 7FC40280
	v_mov_b32_e32 v227, 0                                      // 000000003438: 7FC60280
	v_mov_b32_e32 v228, 0                                      // 00000000343C: 7FC80280
	v_mov_b32_e32 v229, 0                                      // 000000003440: 7FCA0280
	v_mov_b32_e32 v230, 0                                      // 000000003444: 7FCC0280
	v_mov_b32_e32 v231, 0                                      // 000000003448: 7FCE0280
	v_mov_b32_e32 v232, 0                                      // 00000000344C: 7FD00280
	v_mov_b32_e32 v233, 0                                      // 000000003450: 7FD20280
	v_mov_b32_e32 v234, 0                                      // 000000003454: 7FD40280
	v_mov_b32_e32 v235, 0                                      // 000000003458: 7FD60280
	v_mov_b32_e32 v236, 0                                      // 00000000345C: 7FD80280
	v_mov_b32_e32 v237, 0                                      // 000000003460: 7FDA0280
	v_mov_b32_e32 v238, 0                                      // 000000003464: 7FDC0280
	v_mov_b32_e32 v239, 0                                      // 000000003468: 7FDE0280
	v_mov_b32_e32 v240, 0                                      // 00000000346C: 7FE00280
	v_mov_b32_e32 v241, 0                                      // 000000003470: 7FE20280
	v_mov_b32_e32 v242, 0                                      // 000000003474: 7FE40280
	v_mov_b32_e32 v243, 0                                      // 000000003478: 7FE60280
	v_mov_b32_e32 v244, 0                                      // 00000000347C: 7FE80280
	v_mov_b32_e32 v245, 0                                      // 000000003480: 7FEA0280
	v_mov_b32_e32 v246, 0                                      // 000000003484: 7FEC0280
	v_mov_b32_e32 v247, 0                                      // 000000003488: 7FEE0280
	v_mov_b32_e32 v248, 0                                      // 00000000348C: 7FF00280
	v_mov_b32_e32 v249, 0                                      // 000000003490: 7FF20280
	v_mov_b32_e32 v250, 0                                      // 000000003494: 7FF40280
	v_mov_b32_e32 v251, 0                                      // 000000003498: 7FF60280
	v_mov_b32_e32 v252, 0                                      // 00000000349C: 7FF80280
	v_mov_b32_e32 v253, 0                                      // 0000000034A0: 7FFA0280
	v_mov_b32_e32 v254, 0                                      // 0000000034A4: 7FFC0280
	v_mov_b32_e32 v255, 0                                      // 0000000034A8: 7FFE0280
	v_accvgpr_write_b32 a144, 0                                // 0000000034AC: D3D94090 18000080
	v_accvgpr_write_b32 a145, 0                                // 0000000034B4: D3D94091 18000080
	v_accvgpr_write_b32 a146, 0                                // 0000000034BC: D3D94092 18000080
	v_accvgpr_write_b32 a147, 0                                // 0000000034C4: D3D94093 18000080
	v_accvgpr_write_b32 a148, 0                                // 0000000034CC: D3D94094 18000080
	v_accvgpr_write_b32 a149, 0                                // 0000000034D4: D3D94095 18000080
	v_accvgpr_write_b32 a150, 0                                // 0000000034DC: D3D94096 18000080
	v_accvgpr_write_b32 a151, 0                                // 0000000034E4: D3D94097 18000080
	v_accvgpr_write_b32 a152, 0                                // 0000000034EC: D3D94098 18000080
	v_accvgpr_write_b32 a153, 0                                // 0000000034F4: D3D94099 18000080
	v_accvgpr_write_b32 a154, 0                                // 0000000034FC: D3D9409A 18000080
	v_accvgpr_write_b32 a155, 0                                // 000000003504: D3D9409B 18000080
	v_accvgpr_write_b32 a156, 0                                // 00000000350C: D3D9409C 18000080
	v_accvgpr_write_b32 a157, 0                                // 000000003514: D3D9409D 18000080
	v_accvgpr_write_b32 a158, 0                                // 00000000351C: D3D9409E 18000080
	v_accvgpr_write_b32 a159, 0                                // 000000003524: D3D9409F 18000080
	v_accvgpr_write_b32 a160, 0                                // 00000000352C: D3D940A0 18000080
	v_accvgpr_write_b32 a161, 0                                // 000000003534: D3D940A1 18000080
	v_accvgpr_write_b32 a162, 0                                // 00000000353C: D3D940A2 18000080
	v_accvgpr_write_b32 a163, 0                                // 000000003544: D3D940A3 18000080
	v_accvgpr_write_b32 a164, 0                                // 00000000354C: D3D940A4 18000080
	v_accvgpr_write_b32 a165, 0                                // 000000003554: D3D940A5 18000080
	v_accvgpr_write_b32 a166, 0                                // 00000000355C: D3D940A6 18000080
	v_accvgpr_write_b32 a167, 0                                // 000000003564: D3D940A7 18000080
	v_accvgpr_write_b32 a168, 0                                // 00000000356C: D3D940A8 18000080
	v_accvgpr_write_b32 a169, 0                                // 000000003574: D3D940A9 18000080
	v_accvgpr_write_b32 a170, 0                                // 00000000357C: D3D940AA 18000080
	v_accvgpr_write_b32 a171, 0                                // 000000003584: D3D940AB 18000080
	v_accvgpr_write_b32 a172, 0                                // 00000000358C: D3D940AC 18000080
	v_accvgpr_write_b32 a173, 0                                // 000000003594: D3D940AD 18000080
	v_accvgpr_write_b32 a174, 0                                // 00000000359C: D3D940AE 18000080
	v_accvgpr_write_b32 a175, 0                                // 0000000035A4: D3D940AF 18000080
	v_accvgpr_write_b32 a176, 0                                // 0000000035AC: D3D940B0 18000080
	v_accvgpr_write_b32 a177, 0                                // 0000000035B4: D3D940B1 18000080
	v_accvgpr_write_b32 a178, 0                                // 0000000035BC: D3D940B2 18000080
	v_accvgpr_write_b32 a179, 0                                // 0000000035C4: D3D940B3 18000080
	v_accvgpr_write_b32 a180, 0                                // 0000000035CC: D3D940B4 18000080
	v_accvgpr_write_b32 a181, 0                                // 0000000035D4: D3D940B5 18000080
	v_accvgpr_write_b32 a182, 0                                // 0000000035DC: D3D940B6 18000080
	v_accvgpr_write_b32 a183, 0                                // 0000000035E4: D3D940B7 18000080
	v_accvgpr_write_b32 a184, 0                                // 0000000035EC: D3D940B8 18000080
	v_accvgpr_write_b32 a185, 0                                // 0000000035F4: D3D940B9 18000080
	v_accvgpr_write_b32 a186, 0                                // 0000000035FC: D3D940BA 18000080
	v_accvgpr_write_b32 a187, 0                                // 000000003604: D3D940BB 18000080
	v_accvgpr_write_b32 a188, 0                                // 00000000360C: D3D940BC 18000080
	v_accvgpr_write_b32 a189, 0                                // 000000003614: D3D940BD 18000080
	v_accvgpr_write_b32 a190, 0                                // 00000000361C: D3D940BE 18000080
	v_accvgpr_write_b32 a191, 0                                // 000000003624: D3D940BF 18000080
	v_accvgpr_write_b32 a192, 0                                // 00000000362C: D3D940C0 18000080
	v_accvgpr_write_b32 a193, 0                                // 000000003634: D3D940C1 18000080
	v_accvgpr_write_b32 a194, 0                                // 00000000363C: D3D940C2 18000080
	v_accvgpr_write_b32 a195, 0                                // 000000003644: D3D940C3 18000080
	v_accvgpr_write_b32 a196, 0                                // 00000000364C: D3D940C4 18000080
	v_accvgpr_write_b32 a197, 0                                // 000000003654: D3D940C5 18000080
	v_accvgpr_write_b32 a198, 0                                // 00000000365C: D3D940C6 18000080
	v_accvgpr_write_b32 a199, 0                                // 000000003664: D3D940C7 18000080
	v_lshrrev_b32_e32 v20, 4, v0                               // 00000000366C: 20280084
	v_mul_i32_i24_e32 v21, 4, v20                              // 000000003670: 0C2A2884
	v_and_b32_e32 v20, 15, v0                                  // 000000003674: 2628008F
	v_and_b32_e32 v22, 3, v20                                  // 000000003678: 262C2883
	v_mul_i32_i24_e32 v22, 0x488, v22                          // 00000000367C: 0C2C2CFF 00000488
	v_add_u32_e32 v4, v22, v21                                 // 000000003684: 68082B16
	v_lshrrev_b32_e32 v20, 2, v20                              // 000000003688: 20282882
	v_and_b32_e32 v21, 1, v20                                  // 00000000368C: 262A2881
	v_mul_i32_i24_e32 v21, 16, v21                             // 000000003690: 0C2A2A90
	v_add_u32_e32 v4, v4, v21                                  // 000000003694: 68082B04
	v_and_b32_e32 v21, 2, v20                                  // 000000003698: 262A2882
	v_mul_i32_i24_e32 v21, 0x120, v21                          // 00000000369C: 0C2A2AFF 00000120
	v_add_u32_e32 v4, v4, v21                                  // 0000000036A4: 68082B04
	v_lshlrev_b32_e32 v4, 2, v4                                // 0000000036A8: 24080882
	v_lshrrev_b32_e32 v20, 5, v0                               // 0000000036AC: 20280085
	v_mul_i32_i24_e32 v5, 0x240, v20                           // 0000000036B0: 0C0A28FF 00000240
	v_and_b32_e32 v20, 31, v0                                  // 0000000036B8: 2628009F
	v_add_u32_e32 v5, v20, v5                                  // 0000000036BC: 680A0B14
	s_mul_i32 s56, 64, s7                                      // 0000000036C0: 923807C0
	v_add_u32_e64 v5, v5, s56                                  // 0000000036C4: D1340005 00007105
	v_lshlrev_b32_e32 v5, 2, v5                                // 0000000036CC: 240A0A82
	v_lshlrev_b32_e32 v6, 2, v0                                // 0000000036D0: 240C0082
	s_mul_i32 s56, 0x200, s7                                   // 0000000036D4: 923807FF 00000200
	v_add_u32_e64 v6, v6, s56                                  // 0000000036DC: D1340006 00007106
	v_lshlrev_b32_e32 v6, 2, v6                                // 0000000036E4: 240C0C82
	v_lshlrev_b32_e32 v7, 4, v0                                // 0000000036E8: 240E0084
	v_mul_u32_u24_dpp v18, v11, v9 row_newbcast:0 row_mask:0xf bank_mask:0xf// 0000000036EC: 102412FA FF01500B
	v_mul_u32_u24_dpp v19, v11, v9 row_newbcast:8 row_mask:0xf bank_mask:0xf// 0000000036F4: 102612FA FF01580B
	v_add_u32_e32 v18, v18, v1                                 // 0000000036FC: 68240312
	v_add_u32_e32 v19, v19, v1                                 // 000000003700: 68260313
	s_mov_b32 m0, s36                                          // 000000003704: BEFC0024
	buffer_load_dword v11, v8, s[24:27], 0 offen               // 000000003708: E0501000 80060B08
	v_add_u32_e32 v8, s73, v8                                  // 000000003710: 68101049
	buffer_load_dword v18, s[20:23], 0 offen lds               // 000000003714: E0511000 80050012
	s_add_u32 m0, 0, s37                                       // 00000000371C: 807C2580
	buffer_load_dword v19, s[20:23], 0 offen lds               // 000000003720: E0511000 80050013
	s_add_u32 m0, 0xc0, s36                                    // 000000003728: 807C24FF 000000C0
	buffer_load_dword v18, s[20:23], 0 offen offset:64 lds     // 000000003730: E0511040 80050012
	s_add_u32 m0, 0xc0, s37                                    // 000000003738: 807C25FF 000000C0
	buffer_load_dword v19, s[20:23], 0 offen offset:64 lds     // 000000003740: E0511040 80050013
	s_add_u32 m0, 0x180, s36                                   // 000000003748: 807C24FF 00000180
	buffer_load_dword v18, s[20:23], 0 offen offset:128 lds    // 000000003750: E0511080 80050012
	s_add_u32 m0, 0x180, s37                                   // 000000003758: 807C25FF 00000180
	buffer_load_dword v19, s[20:23], 0 offen offset:128 lds    // 000000003760: E0511080 80050013
	s_add_u32 m0, 0x240, s36                                   // 000000003768: 807C24FF 00000240
	buffer_load_dword v18, s[20:23], 0 offen offset:192 lds    // 000000003770: E05110C0 80050012
	s_add_u32 m0, 0x240, s37                                   // 000000003778: 807C25FF 00000240
	buffer_load_dword v19, s[20:23], 0 offen offset:192 lds    // 000000003780: E05110C0 80050013
	s_add_u32 m0, 0x300, s36                                   // 000000003788: 807C24FF 00000300
	buffer_load_dword v18, s[20:23], 0 offen offset:256 lds    // 000000003790: E0511100 80050012
	s_add_u32 m0, 0x300, s37                                   // 000000003798: 807C25FF 00000300
	buffer_load_dword v19, s[20:23], 0 offen offset:256 lds    // 0000000037A0: E0511100 80050013
	s_add_u32 m0, 0x3c0, s36                                   // 0000000037A8: 807C24FF 000003C0
	buffer_load_dword v18, s[20:23], 0 offen offset:320 lds    // 0000000037B0: E0511140 80050012
	s_add_u32 m0, 0x3c0, s37                                   // 0000000037B8: 807C25FF 000003C0
	buffer_load_dword v19, s[20:23], 0 offen offset:320 lds    // 0000000037C0: E0511140 80050013
	s_add_u32 m0, 0x480, s36                                   // 0000000037C8: 807C24FF 00000480
	buffer_load_dword v18, s[20:23], 0 offen offset:384 lds    // 0000000037D0: E0511180 80050012
	s_add_u32 m0, 0x480, s37                                   // 0000000037D8: 807C25FF 00000480
	buffer_load_dword v19, s[20:23], 0 offen offset:384 lds    // 0000000037E0: E0511180 80050013
	s_add_u32 m0, 0x540, s36                                   // 0000000037E8: 807C24FF 00000540
	buffer_load_dword v18, s[20:23], 0 offen offset:448 lds    // 0000000037F0: E05111C0 80050012
	s_add_u32 m0, 0x540, s37                                   // 0000000037F8: 807C25FF 00000540
	buffer_load_dword v19, s[20:23], 0 offen offset:448 lds    // 000000003800: E05111C0 80050013
	s_add_u32 m0, 0x600, s36                                   // 000000003808: 807C24FF 00000600
	buffer_load_dword v18, s[20:23], 0 offen offset:512 lds    // 000000003810: E0511200 80050012
	s_add_u32 m0, 0x600, s37                                   // 000000003818: 807C25FF 00000600
	buffer_load_dword v19, s[20:23], 0 offen offset:512 lds    // 000000003820: E0511200 80050013
	s_add_u32 m0, 0x6c0, s36                                   // 000000003828: 807C24FF 000006C0
	s_waitcnt vmcnt(19) lgkmcnt(0)                             // 000000003830: BF8C4073
	s_barrier                                                  // 000000003834: BF8A0000
	v_mul_u32_u24_dpp v18, v10, v9 row_newbcast:0 row_mask:0xf bank_mask:0xf// 000000003838: 102412FA FF01500A
	v_mul_u32_u24_dpp v19, v10, v9 row_newbcast:8 row_mask:0xf bank_mask:0xf// 000000003840: 102612FA FF01580A
	v_add_u32_e32 v18, v18, v1                                 // 000000003848: 68240312
	v_add_u32_e32 v19, v19, v1                                 // 00000000384C: 68260313
	s_mov_b32 m0, s34                                          // 000000003850: BEFC0022
	ds_read_b32 v20, v5                                        // 000000003854: D86C0000 14000005
	ds_read_b32 v21, v5 offset:4640                            // 00000000385C: D86C1220 15000005
	ds_read_b32 v22, v5 offset:9280                            // 000000003864: D86C2440 16000005
	ds_read_b32 v23, v5 offset:13920                           // 00000000386C: D86C3660 17000005
	ds_read_b32 v24, v5 offset:128                             // 000000003874: D86C0080 18000005
	ds_read_b32 v25, v5 offset:4768                            // 00000000387C: D86C12A0 19000005
	ds_read_b32 v26, v5 offset:9408                            // 000000003884: D86C24C0 1A000005
	ds_read_b32 v27, v5 offset:14048                           // 00000000388C: D86C36E0 1B000005
	s_waitcnt lgkmcnt(0)                                       // 000000003894: BF8CC07F
	v_perm_b32 v32, v22, v20, s52                              // 000000003898: D1ED0020 00D22916
	v_perm_b32 v33, v22, v20, s53                              // 0000000038A0: D1ED0021 00D62916
	v_perm_b32 v34, v23, v21, s52                              // 0000000038A8: D1ED0022 00D22B17
	v_perm_b32 v35, v23, v21, s53                              // 0000000038B0: D1ED0023 00D62B17
	v_perm_b32 v28, v34, v32, s54                              // 0000000038B8: D1ED001C 00DA4122
	v_perm_b32 v36, v34, v32, s55                              // 0000000038C0: D1ED0024 00DE4122
	v_perm_b32 v30, v35, v33, s54                              // 0000000038C8: D1ED001E 00DA4323
	v_perm_b32 v38, v35, v33, s55                              // 0000000038D0: D1ED0026 00DE4323
	v_perm_b32 v32, v26, v24, s52                              // 0000000038D8: D1ED0020 00D2311A
	v_perm_b32 v33, v26, v24, s53                              // 0000000038E0: D1ED0021 00D6311A
	v_perm_b32 v34, v27, v25, s52                              // 0000000038E8: D1ED0022 00D2331B
	v_perm_b32 v35, v27, v25, s53                              // 0000000038F0: D1ED0023 00D6331B
	v_perm_b32 v29, v34, v32, s54                              // 0000000038F8: D1ED001D 00DA4122
	v_perm_b32 v37, v34, v32, s55                              // 000000003900: D1ED0025 00DE4122
	v_perm_b32 v31, v35, v33, s54                              // 000000003908: D1ED001F 00DA4323
	v_perm_b32 v39, v35, v33, s55                              // 000000003910: D1ED0027 00DE4323
	ds_write_b128 v6, v[28:31] offset:37120                    // 000000003918: D9BE9100 00001C06
	ds_write_b128 v6, v[36:39] offset:38144                    // 000000003920: D9BE9500 00002406
	ds_read_b32 v20, v5 offset:1024                            // 000000003928: D86C0400 14000005
	ds_read_b32 v21, v5 offset:5664                            // 000000003930: D86C1620 15000005
	ds_read_b32 v22, v5 offset:10304                           // 000000003938: D86C2840 16000005
	ds_read_b32 v23, v5 offset:14944                           // 000000003940: D86C3A60 17000005
	ds_read_b32 v24, v5 offset:1152                            // 000000003948: D86C0480 18000005
	ds_read_b32 v25, v5 offset:5792                            // 000000003950: D86C16A0 19000005
	ds_read_b32 v26, v5 offset:10432                           // 000000003958: D86C28C0 1A000005
	ds_read_b32 v27, v5 offset:15072                           // 000000003960: D86C3AE0 1B000005
	ds_read_b128 a[72:75], v4                                  // 000000003968: DBFE0000 48000004
	ds_read_b128 a[76:79], v4 offset:256                       // 000000003970: DBFE0100 4C000004
	ds_read_b128 a[80:83], v4 offset:512                       // 000000003978: DBFE0200 50000004
	ds_read_b128 a[84:87], v4 offset:768                       // 000000003980: DBFE0300 54000004
	ds_read_b128 a[88:91], v4 offset:1024                      // 000000003988: DBFE0400 58000004
	ds_read_b128 a[92:95], v4 offset:1280                      // 000000003990: DBFE0500 5C000004
	ds_read_b128 a[96:99], v4 offset:1536                      // 000000003998: DBFE0600 60000004
	ds_read_b128 a[100:103], v4 offset:1792                    // 0000000039A0: DBFE0700 64000004
	ds_read_b128 a[104:107], v4 offset:2048                    // 0000000039A8: DBFE0800 68000004
	s_nop 0                                                    // 0000000039B0: BF800000
	s_cmp_lt_u32 s71, 1                                        // 0000000039B4: BF0A8147
	s_cbranch_scc1 label_1838                                  // 0000000039B8: BF851289
	s_cmp_lt_i32 s7, 2                                         // 0000000039BC: BF048207
	s_cbranch_scc0 label_0EF5                                  // 0000000039C0: BF840944

00000000000039c4 <label_05B1>:
	s_waitcnt lgkmcnt(4)                                       // 0000000039C4: BF8CC47F
	v_mfma_f32_16x16x32_fp8_fp8 v[40:43], a[72:73], a[0:1], 0  // 0000000039C8: D3F30028 1A020148
	ds_read_b128 a[104:107], v4 offset:2048                    // 0000000039D0: DBFE0800 68000004
	ds_read_b128 a[108:111], v4 offset:128                     // 0000000039D8: DBFE0080 6C000004
	v_mfma_f32_16x16x32_fp8_fp8 v[40:43], a[74:75], a[2:3], v[40:43]// 0000000039E0: D3F30028 1CA2054A
	buffer_load_dword v10, v8, s[24:27], 0 offen               // 0000000039E8: E0501000 80060A08
	v_mfma_f32_16x16x32_fp8_fp8 v[40:43], a[76:77], a[4:5], v[40:43]// 0000000039F0: D3F30028 1CA2094C
	v_mfma_f32_16x16x32_fp8_fp8 v[40:43], a[78:79], a[6:7], v[40:43]// 0000000039F8: D3F30028 1CA20D4E
	v_mfma_f32_16x16x32_fp8_fp8 v[40:43], a[80:81], a[8:9], v[40:43]// 000000003A00: D3F30028 1CA21150
	ds_read_b128 a[112:115], v4 offset:384                     // 000000003A08: DBFE0180 70000004
	ds_read_b128 a[116:119], v4 offset:640                     // 000000003A10: DBFE0280 74000004
	v_mfma_f32_16x16x32_fp8_fp8 v[40:43], a[82:83], a[10:11], v[40:43]// 000000003A18: D3F30028 1CA21552
	v_mfma_f32_16x16x32_fp8_fp8 v[40:43], a[84:85], a[12:13], v[40:43]// 000000003A20: D3F30028 1CA21954
	v_mfma_f32_16x16x32_fp8_fp8 v[40:43], a[86:87], a[14:15], v[40:43]// 000000003A28: D3F30028 1CA21D56
	s_waitcnt lgkmcnt(4)                                       // 000000003A30: BF8CC47F
	v_mfma_f32_16x16x32_fp8_fp8 v[40:43], a[88:89], a[16:17], v[40:43]// 000000003A34: D3F30028 1CA22158
	ds_read_b128 a[120:123], v4 offset:896                     // 000000003A3C: DBFE0380 78000004
	ds_read_b128 a[124:127], v4 offset:1152                    // 000000003A44: DBFE0480 7C000004
	v_mfma_f32_16x16x32_fp8_fp8 v[40:43], a[90:91], a[18:19], v[40:43]// 000000003A4C: D3F30028 1CA2255A
	v_mfma_f32_16x16x32_fp8_fp8 v[40:43], a[92:93], a[20:21], v[40:43]// 000000003A54: D3F30028 1CA2295C
	v_mfma_f32_16x16x32_fp8_fp8 v[40:43], a[94:95], a[22:23], v[40:43]// 000000003A5C: D3F30028 1CA22D5E
	v_mfma_f32_16x16x32_fp8_fp8 v[40:43], a[96:97], a[24:25], v[40:43]// 000000003A64: D3F30028 1CA23160
	ds_read_b128 a[128:131], v4 offset:1408                    // 000000003A6C: DBFE0580 80000004
	ds_read_b128 a[132:135], v4 offset:1664                    // 000000003A74: DBFE0680 84000004
	v_mfma_f32_16x16x32_fp8_fp8 v[40:43], a[98:99], a[26:27], v[40:43]// 000000003A7C: D3F30028 1CA23562
	v_mfma_f32_16x16x32_fp8_fp8 v[40:43], a[100:101], a[28:29], v[40:43]// 000000003A84: D3F30028 1CA23964
	v_mfma_f32_16x16x32_fp8_fp8 v[40:43], a[102:103], a[30:31], v[40:43]// 000000003A8C: D3F30028 1CA23D66
	s_waitcnt lgkmcnt(4)                                       // 000000003A94: BF8CC47F
	s_barrier                                                  // 000000003A98: BF8A0000
	v_mfma_f32_16x16x32_fp8_fp8 v[40:43], a[104:105], a[32:33], v[40:43]// 000000003A9C: D3F30028 1CA24168
	ds_read_b128 a[136:139], v4 offset:1920                    // 000000003AA4: DBFE0780 88000004
	ds_read_b128 a[140:143], v4 offset:2176                    // 000000003AAC: DBFE0880 8C000004
	v_mfma_f32_16x16x32_fp8_fp8 v[40:43], a[106:107], a[34:35], v[40:43]// 000000003AB4: D3F30028 1CA2456A
	v_mfma_f32_16x16x32_fp8_fp8 v[44:47], a[108:109], a[0:1], 0// 000000003ABC: D3F3002C 1A02016C
	v_perm_b32 v32, v22, v20, s52                              // 000000003AC4: D1ED0020 00D22916
	v_perm_b32 v33, v22, v20, s53                              // 000000003ACC: D1ED0021 00D62916
	v_perm_b32 v34, v23, v21, s52                              // 000000003AD4: D1ED0022 00D22B17
	v_perm_b32 v35, v23, v21, s53                              // 000000003ADC: D1ED0023 00D62B17
	v_perm_b32 v28, v34, v32, s54                              // 000000003AE4: D1ED001C 00DA4122
	v_perm_b32 v36, v34, v32, s55                              // 000000003AEC: D1ED0024 00DE4122
	v_perm_b32 v30, v35, v33, s54                              // 000000003AF4: D1ED001E 00DA4323
	v_perm_b32 v38, v35, v33, s55                              // 000000003AFC: D1ED0026 00DE4323
	v_mfma_f32_16x16x32_fp8_fp8 v[44:47], a[110:111], a[2:3], v[44:47]// 000000003B04: D3F3002C 1CB2056E
	buffer_load_dword v18, s[20:23], 0 offen lds               // 000000003B0C: E0511000 80050012
	s_add_u32 m0, 0, s35                                       // 000000003B14: 807C2380
	v_mfma_f32_16x16x32_fp8_fp8 v[44:47], a[112:113], a[4:5], v[44:47]// 000000003B18: D3F3002C 1CB20970
	v_perm_b32 v32, v26, v24, s52                              // 000000003B20: D1ED0020 00D2311A
	v_perm_b32 v33, v26, v24, s53                              // 000000003B28: D1ED0021 00D6311A
	v_perm_b32 v34, v27, v25, s52                              // 000000003B30: D1ED0022 00D2331B
	v_perm_b32 v35, v27, v25, s53                              // 000000003B38: D1ED0023 00D6331B
	v_perm_b32 v29, v34, v32, s54                              // 000000003B40: D1ED001D 00DA4122
	v_perm_b32 v37, v34, v32, s55                              // 000000003B48: D1ED0025 00DE4122
	v_perm_b32 v31, v35, v33, s54                              // 000000003B50: D1ED001F 00DA4323
	v_perm_b32 v39, v35, v33, s55                              // 000000003B58: D1ED0027 00DE4323
	v_mfma_f32_16x16x32_fp8_fp8 v[44:47], a[114:115], a[6:7], v[44:47]// 000000003B60: D3F3002C 1CB20D72
	buffer_load_dword v19, s[20:23], 0 offen lds               // 000000003B68: E0511000 80050013
	s_add_u32 m0, 0xc0, s34                                    // 000000003B70: 807C22FF 000000C0
	v_mfma_f32_16x16x32_fp8_fp8 v[44:47], a[116:117], a[8:9], v[44:47]// 000000003B78: D3F3002C 1CB21174
	ds_write_b128 v6, v[28:31] offset:45312                    // 000000003B80: D9BEB100 00001C06
	v_mfma_f32_16x16x32_fp8_fp8 v[44:47], a[118:119], a[10:11], v[44:47]// 000000003B88: D3F3002C 1CB21576
	buffer_load_dword v18, s[20:23], 0 offen offset:64 lds     // 000000003B90: E0511040 80050012
	s_add_u32 m0, 0xc0, s35                                    // 000000003B98: 807C23FF 000000C0
	s_waitcnt lgkmcnt(1)                                       // 000000003BA0: BF8CC17F
	v_mfma_f32_16x16x32_fp8_fp8 v[44:47], a[120:121], a[12:13], v[44:47]// 000000003BA4: D3F3002C 1CB21978
	ds_write_b128 v6, v[36:39] offset:46336                    // 000000003BAC: D9BEB500 00002406
	v_mfma_f32_16x16x32_fp8_fp8 v[44:47], a[122:123], a[14:15], v[44:47]// 000000003BB4: D3F3002C 1CB21D7A
	buffer_load_dword v19, s[20:23], 0 offen offset:64 lds     // 000000003BBC: E0511040 80050013
	s_add_u32 m0, 0x180, s34                                   // 000000003BC4: 807C22FF 00000180
	v_mfma_f32_16x16x32_fp8_fp8 v[44:47], a[124:125], a[16:17], v[44:47]// 000000003BCC: D3F3002C 1CB2217C
	v_mfma_f32_16x16x32_fp8_fp8 v[44:47], a[126:127], a[18:19], v[44:47]// 000000003BD4: D3F3002C 1CB2257E
	buffer_load_dword v18, s[20:23], 0 offen offset:128 lds    // 000000003BDC: E0511080 80050012
	s_add_u32 m0, 0x180, s35                                   // 000000003BE4: 807C23FF 00000180
	v_mfma_f32_16x16x32_fp8_fp8 v[44:47], a[128:129], a[20:21], v[44:47]// 000000003BEC: D3F3002C 1CB22980
	v_mfma_f32_16x16x32_fp8_fp8 v[44:47], a[130:131], a[22:23], v[44:47]// 000000003BF4: D3F3002C 1CB22D82
	buffer_load_dword v19, s[20:23], 0 offen offset:128 lds    // 000000003BFC: E0511080 80050013
	s_add_u32 m0, 0x240, s34                                   // 000000003C04: 807C22FF 00000240
	v_mfma_f32_16x16x32_fp8_fp8 v[44:47], a[132:133], a[24:25], v[44:47]// 000000003C0C: D3F3002C 1CB23184
	v_mfma_f32_16x16x32_fp8_fp8 v[44:47], a[134:135], a[26:27], v[44:47]// 000000003C14: D3F3002C 1CB23586
	buffer_load_dword v18, s[20:23], 0 offen offset:192 lds    // 000000003C1C: E05110C0 80050012
	s_add_u32 m0, 0x240, s35                                   // 000000003C24: 807C23FF 00000240
	v_mfma_f32_16x16x32_fp8_fp8 v[44:47], a[136:137], a[28:29], v[44:47]// 000000003C2C: D3F3002C 1CB23988
	v_mfma_f32_16x16x32_fp8_fp8 v[44:47], a[138:139], a[30:31], v[44:47]// 000000003C34: D3F3002C 1CB23D8A
	buffer_load_dword v19, s[20:23], 0 offen offset:192 lds    // 000000003C3C: E05110C0 80050013
	s_add_u32 m0, 0x300, s34                                   // 000000003C44: 807C22FF 00000300
	v_mfma_f32_16x16x32_fp8_fp8 v[44:47], a[140:141], a[32:33], v[44:47]// 000000003C4C: D3F3002C 1CB2418C
	v_mfma_f32_16x16x32_fp8_fp8 v[44:47], a[142:143], a[34:35], v[44:47]// 000000003C54: D3F3002C 1CB2458E
	buffer_load_dword v18, s[20:23], 0 offen offset:256 lds    // 000000003C5C: E0511100 80050012
	s_add_u32 m0, 0x300, s35                                   // 000000003C64: 807C23FF 00000300
	v_add_u32_e32 v8, s73, v8                                  // 000000003C6C: 68101049
	s_waitcnt lgkmcnt(0)                                       // 000000003C70: BF8CC07F
	s_barrier                                                  // 000000003C74: BF8A0000
	v_mfma_f32_16x16x32_fp8_fp8 v[48:51], a[72:73], a[36:37], 0// 000000003C78: D3F30030 1A024948
	v_mfma_f32_16x16x32_fp8_fp8 v[48:51], a[74:75], a[38:39], v[48:51]// 000000003C80: D3F30030 1CC24D4A
	v_max3_f32 v24, v40, v41, v40                              // 000000003C88: D1D30018 04A25328
	v_max3_f32 v24, v42, v43, v24                              // 000000003C90: D1D30018 0462572A
	v_max3_f32 v24, v44, v45, v24                              // 000000003C98: D1D30018 04625B2C
	v_max3_f32 v24, v46, v47, v24                              // 000000003CA0: D1D30018 04625F2E
	ds_write_b32 v3, v24 offset:53504                          // 000000003CA8: D81AD100 00001803
	v_mfma_f32_16x16x32_fp8_fp8 v[48:51], a[76:77], a[40:41], v[48:51]// 000000003CB0: D3F30030 1CC2514C
	v_mfma_f32_16x16x32_fp8_fp8 v[48:51], a[78:79], a[42:43], v[48:51]// 000000003CB8: D3F30030 1CC2554E
	buffer_load_dword v19, s[20:23], 0 offen offset:256 lds    // 000000003CC0: E0511100 80050013
	s_add_u32 m0, 0x3c0, s34                                   // 000000003CC8: 807C22FF 000003C0
	v_mfma_f32_16x16x32_fp8_fp8 v[48:51], a[80:81], a[44:45], v[48:51]// 000000003CD0: D3F30030 1CC25950
	v_mfma_f32_16x16x32_fp8_fp8 v[48:51], a[82:83], a[46:47], v[48:51]// 000000003CD8: D3F30030 1CC25D52
	buffer_load_dword v18, s[20:23], 0 offen offset:320 lds    // 000000003CE0: E0511140 80050012
	s_add_u32 m0, 0x3c0, s35                                   // 000000003CE8: 807C23FF 000003C0
	v_mfma_f32_16x16x32_fp8_fp8 v[48:51], a[84:85], a[48:49], v[48:51]// 000000003CF0: D3F30030 1CC26154
	s_waitcnt lgkmcnt(0)                                       // 000000003CF8: BF8CC07F
	ds_read_b32 v20, v2 offset:53504                           // 000000003CFC: D86CD100 14000002
	ds_read_b32 v21, v2 offset:53568                           // 000000003D04: D86CD140 15000002
	v_mfma_f32_16x16x32_fp8_fp8 v[48:51], a[86:87], a[50:51], v[48:51]// 000000003D0C: D3F30030 1CC26556
	ds_read_b32 v22, v2 offset:53632                           // 000000003D14: D86CD180 16000002
	ds_read_b32 v23, v2 offset:53696                           // 000000003D1C: D86CD1C0 17000002
	v_mfma_f32_16x16x32_fp8_fp8 v[48:51], a[88:89], a[52:53], v[48:51]// 000000003D24: D3F30030 1CC26958
	v_mfma_f32_16x16x32_fp8_fp8 v[48:51], a[90:91], a[54:55], v[48:51]// 000000003D2C: D3F30030 1CC26D5A
	buffer_load_dword v19, s[20:23], 0 offen offset:320 lds    // 000000003D34: E0511140 80050013
	s_add_u32 m0, 0x480, s34                                   // 000000003D3C: 807C22FF 00000480
	v_mfma_f32_16x16x32_fp8_fp8 v[48:51], a[92:93], a[56:57], v[48:51]// 000000003D44: D3F30030 1CC2715C
	v_mfma_f32_16x16x32_fp8_fp8 v[48:51], a[94:95], a[58:59], v[48:51]// 000000003D4C: D3F30030 1CC2755E
	buffer_load_dword v18, s[20:23], 0 offen offset:384 lds    // 000000003D54: E0511180 80050012
	s_add_u32 m0, 0x480, s35                                   // 000000003D5C: 807C23FF 00000480
	v_mfma_f32_16x16x32_fp8_fp8 v[48:51], a[96:97], a[60:61], v[48:51]// 000000003D64: D3F30030 1CC27960
	v_mfma_f32_16x16x32_fp8_fp8 v[48:51], a[98:99], a[62:63], v[48:51]// 000000003D6C: D3F30030 1CC27D62
	buffer_load_dword v19, s[20:23], 0 offen offset:384 lds    // 000000003D74: E0511180 80050013
	s_add_u32 m0, 0x540, s34                                   // 000000003D7C: 807C22FF 00000540
	v_mfma_f32_16x16x32_fp8_fp8 v[48:51], a[100:101], a[64:65], v[48:51]// 000000003D84: D3F30030 1CC28164
	s_waitcnt lgkmcnt(0)                                       // 000000003D8C: BF8CC07F
	v_max3_f32 v24, v20, v21, v24                              // 000000003D90: D1D30018 04622B14
	v_max3_f32 v24, v22, v23, v24                              // 000000003D98: D1D30018 04622F16
	v_mfma_f32_16x16x32_fp8_fp8 v[48:51], a[102:103], a[66:67], v[48:51]// 000000003DA0: D3F30030 1CC28566
	v_mfma_f32_16x16x32_fp8_fp8 v[48:51], a[104:105], a[68:69], v[48:51]// 000000003DA8: D3F30030 1CC28968
	v_mfma_f32_16x16x32_fp8_fp8 v[48:51], a[106:107], a[70:71], v[48:51]// 000000003DB0: D3F30030 1CC28D6A
	buffer_load_dword v18, s[20:23], 0 offen offset:448 lds    // 000000003DB8: E05111C0 80050012
	s_add_u32 m0, 0x540, s35                                   // 000000003DC0: 807C23FF 00000540
	v_mfma_f32_16x16x32_fp8_fp8 v[52:55], a[108:109], a[36:37], 0// 000000003DC8: D3F30034 1A02496C
	v_mfma_f32_16x16x32_fp8_fp8 v[52:55], a[110:111], a[38:39], v[52:55]// 000000003DD0: D3F30034 1CD24D6E
	buffer_load_dword v19, s[20:23], 0 offen offset:448 lds    // 000000003DD8: E05111C0 80050013
	s_add_u32 m0, 0x600, s34                                   // 000000003DE0: 807C22FF 00000600
	v_mfma_f32_16x16x32_fp8_fp8 v[52:55], a[112:113], a[40:41], v[52:55]// 000000003DE8: D3F30034 1CD25170
	ds_read_b128 a[72:75], v7 offset:37120                     // 000000003DF0: DBFE9100 48000007
	ds_read_b128 a[76:79], v7 offset:38144                     // 000000003DF8: DBFE9500 4C000007
	v_mfma_f32_16x16x32_fp8_fp8 v[52:55], a[114:115], a[42:43], v[52:55]// 000000003E00: D3F30034 1CD25572
	buffer_load_dword v18, s[20:23], 0 offen offset:512 lds    // 000000003E08: E0511200 80050012
	s_add_u32 m0, 0x600, s35                                   // 000000003E10: 807C23FF 00000600
	v_mfma_f32_16x16x32_fp8_fp8 v[52:55], a[116:117], a[44:45], v[52:55]// 000000003E18: D3F30034 1CD25974
	v_mfma_f32_16x16x32_fp8_fp8 v[52:55], a[118:119], a[46:47], v[52:55]// 000000003E20: D3F30034 1CD25D76
	v_mfma_f32_16x16x32_fp8_fp8 v[52:55], a[120:121], a[48:49], v[52:55]// 000000003E28: D3F30034 1CD26178
	ds_read_b128 a[80:83], v7 offset:39168                     // 000000003E30: DBFE9900 50000007
	ds_read_b128 a[84:87], v7 offset:40192                     // 000000003E38: DBFE9D00 54000007
	v_mfma_f32_16x16x32_fp8_fp8 v[52:55], a[122:123], a[50:51], v[52:55]// 000000003E40: D3F30034 1CD2657A
	buffer_load_dword v19, s[20:23], 0 offen offset:512 lds    // 000000003E48: E0511200 80050013
	s_add_u32 m0, 0x6c0, s34                                   // 000000003E50: 807C22FF 000006C0
	v_mfma_f32_16x16x32_fp8_fp8 v[52:55], a[124:125], a[52:53], v[52:55]// 000000003E58: D3F30034 1CD2697C
	v_mfma_f32_16x16x32_fp8_fp8 v[52:55], a[126:127], a[54:55], v[52:55]// 000000003E60: D3F30034 1CD26D7E
	v_mfma_f32_16x16x32_fp8_fp8 v[52:55], a[128:129], a[56:57], v[52:55]// 000000003E68: D3F30034 1CD27180
	ds_read_b128 a[88:91], v7 offset:41216                     // 000000003E70: DBFEA100 58000007
	ds_read_b128 a[92:95], v7 offset:42240                     // 000000003E78: DBFEA500 5C000007
	v_mfma_f32_16x16x32_fp8_fp8 v[52:55], a[130:131], a[58:59], v[52:55]// 000000003E80: D3F30034 1CD27582
	v_mfma_f32_16x16x32_fp8_fp8 v[52:55], a[132:133], a[60:61], v[52:55]// 000000003E88: D3F30034 1CD27984
	v_mfma_f32_16x16x32_fp8_fp8 v[52:55], a[134:135], a[62:63], v[52:55]// 000000003E90: D3F30034 1CD27D86
	v_mfma_f32_16x16x32_fp8_fp8 v[52:55], a[136:137], a[64:65], v[52:55]// 000000003E98: D3F30034 1CD28188
	ds_read_b128 a[96:99], v7 offset:43264                     // 000000003EA0: DBFEA900 60000007
	ds_read_b128 a[100:103], v7 offset:44288                   // 000000003EA8: DBFEAD00 64000007
	v_mfma_f32_16x16x32_fp8_fp8 v[52:55], a[138:139], a[66:67], v[52:55]// 000000003EB0: D3F30034 1CD2858A
	v_mfma_f32_16x16x32_fp8_fp8 v[52:55], a[140:141], a[68:69], v[52:55]// 000000003EB8: D3F30034 1CD2898C
	v_mfma_f32_16x16x32_fp8_fp8 v[52:55], a[142:143], a[70:71], v[52:55]// 000000003EC0: D3F30034 1CD28D8E
	v_mov_b32_e32 v25, 0xff7fffff                              // 000000003EC8: 7E3202FF FF7FFFFF
	v_cmp_eq_u32_e64 s[38:39], v25, v12                        // 000000003ED0: D0CA0026 00021919
	v_max_f32_e32 v20, v24, v12                                // 000000003ED8: 16281918
	v_sub_f32_e32 v16, v12, v20                                // 000000003EDC: 0420290C
	v_cndmask_b32_e64 v16, v16, 0, s[38:39]                    // 000000003EE0: D1000010 00990110
	v_mov_b32_e32 v12, v20                                     // 000000003EE8: 7E180314
	v_mul_f32_e32 v21, s5, v20                                 // 000000003EEC: 0A2A2805
	v_mul_f32_e32 v16, s5, v16                                 // 000000003EF0: 0A202005
	v_exp_f32_e32 v16, v16                                     // 000000003EF4: 7E204110
	v_fma_f32 v40, v40, s5, -v21                               // 000000003EF8: D1CB0028 84540B28
	v_fma_f32 v41, v41, s5, -v21                               // 000000003F00: D1CB0029 84540B29
	v_fma_f32 v42, v42, s5, -v21                               // 000000003F08: D1CB002A 84540B2A
	v_fma_f32 v43, v43, s5, -v21                               // 000000003F10: D1CB002B 84540B2B
	v_fma_f32 v44, v44, s5, -v21                               // 000000003F18: D1CB002C 84540B2C
	v_fma_f32 v45, v45, s5, -v21                               // 000000003F20: D1CB002D 84540B2D
	v_fma_f32 v46, v46, s5, -v21                               // 000000003F28: D1CB002E 84540B2E
	v_fma_f32 v47, v47, s5, -v21                               // 000000003F30: D1CB002F 84540B2F
	v_exp_f32_e32 v40, v40                                     // 000000003F38: 7E504128
	v_exp_f32_e32 v41, v41                                     // 000000003F3C: 7E524129
	v_exp_f32_e32 v42, v42                                     // 000000003F40: 7E54412A
	v_exp_f32_e32 v43, v43                                     // 000000003F44: 7E56412B
	v_exp_f32_e32 v44, v44                                     // 000000003F48: 7E58412C
	v_exp_f32_e32 v45, v45                                     // 000000003F4C: 7E5A412D
	v_exp_f32_e32 v46, v46                                     // 000000003F50: 7E5C412E
	v_exp_f32_e32 v47, v47                                     // 000000003F54: 7E5E412F
	v_mul_f32_e32 v14, v16, v14                                // 000000003F58: 0A1C1D10
	v_mov_b32_e32 v22, v40                                     // 000000003F5C: 7E2C0328
	v_add_f32_e32 v22, v41, v22                                // 000000003F60: 022C2D29
	v_add_f32_e32 v22, v42, v22                                // 000000003F64: 022C2D2A
	v_add_f32_e32 v22, v43, v22                                // 000000003F68: 022C2D2B
	v_add_f32_e32 v22, v44, v22                                // 000000003F6C: 022C2D2C
	v_add_f32_e32 v22, v45, v22                                // 000000003F70: 022C2D2D
	v_add_f32_e32 v22, v46, v22                                // 000000003F74: 022C2D2E
	v_add_f32_e32 v22, v47, v22                                // 000000003F78: 022C2D2F
	v_add_f32_e32 v14, v22, v14                                // 000000003F7C: 021C1D16
	v_cvt_pk_fp8_f32 v40, v40, v41                             // 000000003F80: D2A20028 00025328
	v_cvt_pk_fp8_f32 v40, v42, v43 op_sel:[0,0,1]              // 000000003F88: D2A24028 0002572A
	v_cvt_pk_fp8_f32 v41, v44, v45                             // 000000003F90: D2A20029 00025B2C
	v_cvt_pk_fp8_f32 v41, v46, v47 op_sel:[0,0,1]              // 000000003F98: D2A24029 00025F2E
	s_nop 0                                                    // 000000003FA0: BF800000
	v_mul_u32_u24_dpp v18, v11, v9 row_newbcast:0 row_mask:0xf bank_mask:0xf// 000000003FA4: 102412FA FF01500B
	v_mul_u32_u24_dpp v19, v11, v9 row_newbcast:8 row_mask:0xf bank_mask:0xf// 000000003FAC: 102612FA FF01580B
	v_add_u32_e32 v18, v18, v1                                 // 000000003FB4: 68240312
	v_add_u32_e32 v19, v19, v1                                 // 000000003FB8: 68260313
	s_mov_b32 m0, s36                                          // 000000003FBC: BEFC0024
	v_mov_b32_e32 v22, v16                                     // 000000003FC0: 7E2C0310
	v_mov_b32_e32 v23, v16                                     // 000000003FC4: 7E2E0310
	v_pk_mul_f32 v[56:57], v[22:23], v[56:57]                  // 000000003FC8: D3B14038 18027116
	v_pk_mul_f32 v[58:59], v[22:23], v[58:59]                  // 000000003FD0: D3B1403A 18027516
	v_pk_mul_f32 v[60:61], v[22:23], v[60:61]                  // 000000003FD8: D3B1403C 18027916
	v_pk_mul_f32 v[62:63], v[22:23], v[62:63]                  // 000000003FE0: D3B1403E 18027D16
	v_pk_mul_f32 v[64:65], v[22:23], v[64:65]                  // 000000003FE8: D3B14040 18028116
	v_pk_mul_f32 v[66:67], v[22:23], v[66:67]                  // 000000003FF0: D3B14042 18028516
	v_pk_mul_f32 v[68:69], v[22:23], v[68:69]                  // 000000003FF8: D3B14044 18028916
	v_pk_mul_f32 v[70:71], v[22:23], v[70:71]                  // 000000004000: D3B14046 18028D16
	v_pk_mul_f32 v[72:73], v[22:23], v[72:73]                  // 000000004008: D3B14048 18029116
	v_pk_mul_f32 v[74:75], v[22:23], v[74:75]                  // 000000004010: D3B1404A 18029516
	v_pk_mul_f32 v[76:77], v[22:23], v[76:77]                  // 000000004018: D3B1404C 18029916
	v_pk_mul_f32 v[78:79], v[22:23], v[78:79]                  // 000000004020: D3B1404E 18029D16
	v_pk_mul_f32 v[80:81], v[22:23], v[80:81]                  // 000000004028: D3B14050 1802A116
	v_pk_mul_f32 v[82:83], v[22:23], v[82:83]                  // 000000004030: D3B14052 1802A516
	v_pk_mul_f32 v[84:85], v[22:23], v[84:85]                  // 000000004038: D3B14054 1802A916
	v_pk_mul_f32 v[86:87], v[22:23], v[86:87]                  // 000000004040: D3B14056 1802AD16
	v_pk_mul_f32 v[88:89], v[22:23], v[88:89]                  // 000000004048: D3B14058 1802B116
	v_pk_mul_f32 v[90:91], v[22:23], v[90:91]                  // 000000004050: D3B1405A 1802B516
	v_pk_mul_f32 v[92:93], v[22:23], v[92:93]                  // 000000004058: D3B1405C 1802B916
	v_pk_mul_f32 v[94:95], v[22:23], v[94:95]                  // 000000004060: D3B1405E 1802BD16
	v_pk_mul_f32 v[96:97], v[22:23], v[96:97]                  // 000000004068: D3B14060 1802C116
	v_pk_mul_f32 v[98:99], v[22:23], v[98:99]                  // 000000004070: D3B14062 1802C516
	v_pk_mul_f32 v[100:101], v[22:23], v[100:101]              // 000000004078: D3B14064 1802C916
	v_pk_mul_f32 v[102:103], v[22:23], v[102:103]              // 000000004080: D3B14066 1802CD16
	v_pk_mul_f32 v[104:105], v[22:23], v[104:105]              // 000000004088: D3B14068 1802D116
	v_pk_mul_f32 v[106:107], v[22:23], v[106:107]              // 000000004090: D3B1406A 1802D516
	v_pk_mul_f32 v[108:109], v[22:23], v[108:109]              // 000000004098: D3B1406C 1802D916
	v_pk_mul_f32 v[110:111], v[22:23], v[110:111]              // 0000000040A0: D3B1406E 1802DD16
	v_pk_mul_f32 v[112:113], v[22:23], v[112:113]              // 0000000040A8: D3B14070 1802E116
	v_pk_mul_f32 v[114:115], v[22:23], v[114:115]              // 0000000040B0: D3B14072 1802E516
	v_pk_mul_f32 v[116:117], v[22:23], v[116:117]              // 0000000040B8: D3B14074 1802E916
	v_pk_mul_f32 v[118:119], v[22:23], v[118:119]              // 0000000040C0: D3B14076 1802ED16
	v_pk_mul_f32 v[120:121], v[22:23], v[120:121]              // 0000000040C8: D3B14078 1802F116
	v_pk_mul_f32 v[122:123], v[22:23], v[122:123]              // 0000000040D0: D3B1407A 1802F516
	v_pk_mul_f32 v[124:125], v[22:23], v[124:125]              // 0000000040D8: D3B1407C 1802F916
	v_pk_mul_f32 v[126:127], v[22:23], v[126:127]              // 0000000040E0: D3B1407E 1802FD16
	v_pk_mul_f32 v[128:129], v[22:23], v[128:129]              // 0000000040E8: D3B14080 18030116
	v_pk_mul_f32 v[130:131], v[22:23], v[130:131]              // 0000000040F0: D3B14082 18030516
	v_pk_mul_f32 v[132:133], v[22:23], v[132:133]              // 0000000040F8: D3B14084 18030916
	v_pk_mul_f32 v[134:135], v[22:23], v[134:135]              // 000000004100: D3B14086 18030D16
	v_pk_mul_f32 v[136:137], v[22:23], v[136:137]              // 000000004108: D3B14088 18031116
	v_pk_mul_f32 v[138:139], v[22:23], v[138:139]              // 000000004110: D3B1408A 18031516
	v_pk_mul_f32 v[140:141], v[22:23], v[140:141]              // 000000004118: D3B1408C 18031916
	v_pk_mul_f32 v[142:143], v[22:23], v[142:143]              // 000000004120: D3B1408E 18031D16
	v_pk_mul_f32 v[144:145], v[22:23], v[144:145]              // 000000004128: D3B14090 18032116
	v_pk_mul_f32 v[146:147], v[22:23], v[146:147]              // 000000004130: D3B14092 18032516
	v_pk_mul_f32 v[148:149], v[22:23], v[148:149]              // 000000004138: D3B14094 18032916
	v_pk_mul_f32 v[150:151], v[22:23], v[150:151]              // 000000004140: D3B14096 18032D16
	v_pk_mul_f32 v[152:153], v[22:23], v[152:153]              // 000000004148: D3B14098 18033116
	v_pk_mul_f32 v[154:155], v[22:23], v[154:155]              // 000000004150: D3B1409A 18033516
	v_accvgpr_read_b32 v20, a144                               // 000000004158: D3D84014 18000190
	v_accvgpr_read_b32 v21, a145                               // 000000004160: D3D84015 18000191
	v_pk_mul_f32 v[20:21], v[22:23], v[20:21]                  // 000000004168: D3B14014 18022916
	v_accvgpr_write_b32 a144, v20                              // 000000004170: D3D94090 18000114
	v_accvgpr_write_b32 a145, v21                              // 000000004178: D3D94091 18000115
	v_accvgpr_read_b32 v20, a146                               // 000000004180: D3D84014 18000192
	v_accvgpr_read_b32 v21, a147                               // 000000004188: D3D84015 18000193
	v_pk_mul_f32 v[20:21], v[22:23], v[20:21]                  // 000000004190: D3B14014 18022916
	v_accvgpr_write_b32 a146, v20                              // 000000004198: D3D94092 18000114
	v_accvgpr_write_b32 a147, v21                              // 0000000041A0: D3D94093 18000115
	v_accvgpr_read_b32 v20, a148                               // 0000000041A8: D3D84014 18000194
	v_accvgpr_read_b32 v21, a149                               // 0000000041B0: D3D84015 18000195
	v_pk_mul_f32 v[20:21], v[22:23], v[20:21]                  // 0000000041B8: D3B14014 18022916
	v_accvgpr_write_b32 a148, v20                              // 0000000041C0: D3D94094 18000114
	v_accvgpr_write_b32 a149, v21                              // 0000000041C8: D3D94095 18000115
	v_accvgpr_read_b32 v20, a150                               // 0000000041D0: D3D84014 18000196
	v_accvgpr_read_b32 v21, a151                               // 0000000041D8: D3D84015 18000197
	v_pk_mul_f32 v[20:21], v[22:23], v[20:21]                  // 0000000041E0: D3B14014 18022916
	v_accvgpr_write_b32 a150, v20                              // 0000000041E8: D3D94096 18000114
	v_accvgpr_write_b32 a151, v21                              // 0000000041F0: D3D94097 18000115
	v_accvgpr_read_b32 v20, a152                               // 0000000041F8: D3D84014 18000198
	v_accvgpr_read_b32 v21, a153                               // 000000004200: D3D84015 18000199
	v_pk_mul_f32 v[20:21], v[22:23], v[20:21]                  // 000000004208: D3B14014 18022916
	v_accvgpr_write_b32 a152, v20                              // 000000004210: D3D94098 18000114
	v_accvgpr_write_b32 a153, v21                              // 000000004218: D3D94099 18000115
	v_accvgpr_read_b32 v20, a154                               // 000000004220: D3D84014 1800019A
	v_accvgpr_read_b32 v21, a155                               // 000000004228: D3D84015 1800019B
	v_pk_mul_f32 v[20:21], v[22:23], v[20:21]                  // 000000004230: D3B14014 18022916
	v_accvgpr_write_b32 a154, v20                              // 000000004238: D3D9409A 18000114
	v_accvgpr_write_b32 a155, v21                              // 000000004240: D3D9409B 18000115
	v_accvgpr_read_b32 v20, a156                               // 000000004248: D3D84014 1800019C
	v_accvgpr_read_b32 v21, a157                               // 000000004250: D3D84015 1800019D
	v_pk_mul_f32 v[20:21], v[22:23], v[20:21]                  // 000000004258: D3B14014 18022916
	v_accvgpr_write_b32 a156, v20                              // 000000004260: D3D9409C 18000114
	v_accvgpr_write_b32 a157, v21                              // 000000004268: D3D9409D 18000115
	v_accvgpr_read_b32 v20, a158                               // 000000004270: D3D84014 1800019E
	v_accvgpr_read_b32 v21, a159                               // 000000004278: D3D84015 1800019F
	v_pk_mul_f32 v[20:21], v[22:23], v[20:21]                  // 000000004280: D3B14014 18022916
	v_accvgpr_write_b32 a158, v20                              // 000000004288: D3D9409E 18000114
	v_accvgpr_write_b32 a159, v21                              // 000000004290: D3D9409F 18000115
	v_accvgpr_read_b32 v20, a160                               // 000000004298: D3D84014 180001A0
	v_accvgpr_read_b32 v21, a161                               // 0000000042A0: D3D84015 180001A1
	v_pk_mul_f32 v[20:21], v[22:23], v[20:21]                  // 0000000042A8: D3B14014 18022916
	v_accvgpr_write_b32 a160, v20                              // 0000000042B0: D3D940A0 18000114
	v_accvgpr_write_b32 a161, v21                              // 0000000042B8: D3D940A1 18000115
	v_accvgpr_read_b32 v20, a162                               // 0000000042C0: D3D84014 180001A2
	v_accvgpr_read_b32 v21, a163                               // 0000000042C8: D3D84015 180001A3
	v_pk_mul_f32 v[20:21], v[22:23], v[20:21]                  // 0000000042D0: D3B14014 18022916
	v_accvgpr_write_b32 a162, v20                              // 0000000042D8: D3D940A2 18000114
	v_accvgpr_write_b32 a163, v21                              // 0000000042E0: D3D940A3 18000115
	v_accvgpr_read_b32 v20, a164                               // 0000000042E8: D3D84014 180001A4
	v_accvgpr_read_b32 v21, a165                               // 0000000042F0: D3D84015 180001A5
	v_pk_mul_f32 v[20:21], v[22:23], v[20:21]                  // 0000000042F8: D3B14014 18022916
	v_accvgpr_write_b32 a164, v20                              // 000000004300: D3D940A4 18000114
	v_accvgpr_write_b32 a165, v21                              // 000000004308: D3D940A5 18000115
	v_accvgpr_read_b32 v20, a166                               // 000000004310: D3D84014 180001A6
	v_accvgpr_read_b32 v21, a167                               // 000000004318: D3D84015 180001A7
	v_pk_mul_f32 v[20:21], v[22:23], v[20:21]                  // 000000004320: D3B14014 18022916
	v_accvgpr_write_b32 a166, v20                              // 000000004328: D3D940A6 18000114
	v_accvgpr_write_b32 a167, v21                              // 000000004330: D3D940A7 18000115
	v_accvgpr_read_b32 v20, a168                               // 000000004338: D3D84014 180001A8
	v_accvgpr_read_b32 v21, a169                               // 000000004340: D3D84015 180001A9
	v_pk_mul_f32 v[20:21], v[22:23], v[20:21]                  // 000000004348: D3B14014 18022916
	v_accvgpr_write_b32 a168, v20                              // 000000004350: D3D940A8 18000114
	v_accvgpr_write_b32 a169, v21                              // 000000004358: D3D940A9 18000115
	v_accvgpr_read_b32 v20, a170                               // 000000004360: D3D84014 180001AA
	v_accvgpr_read_b32 v21, a171                               // 000000004368: D3D84015 180001AB
	v_pk_mul_f32 v[20:21], v[22:23], v[20:21]                  // 000000004370: D3B14014 18022916
	v_accvgpr_write_b32 a170, v20                              // 000000004378: D3D940AA 18000114
	v_accvgpr_write_b32 a171, v21                              // 000000004380: D3D940AB 18000115
	s_waitcnt lgkmcnt(0)                                       // 000000004388: BF8CC07F
	v_mfma_f32_16x16x32_fp8_fp8 v[56:59], a[72:73], v[40:41], v[56:59]// 00000000438C: D3F30038 0CE25148
	ds_read_b128 a[104:107], v7 offset:45312                   // 000000004394: DBFEB100 68000007
	ds_read_b128 a[108:111], v7 offset:46336                   // 00000000439C: DBFEB500 6C000007
	v_mfma_f32_16x16x32_fp8_fp8 v[60:63], a[74:75], v[40:41], v[60:63]// 0000000043A4: D3F3003C 0CF2514A
	v_mfma_f32_16x16x32_fp8_fp8 v[64:67], a[76:77], v[40:41], v[64:67]// 0000000043AC: D3F30040 0D02514C
	v_mfma_f32_16x16x32_fp8_fp8 v[68:71], a[78:79], v[40:41], v[68:71]// 0000000043B4: D3F30044 0D12514E
	v_mfma_f32_16x16x32_fp8_fp8 v[72:75], a[80:81], v[40:41], v[72:75]// 0000000043BC: D3F30048 0D225150
	ds_read_b128 a[112:115], v7 offset:47360                   // 0000000043C4: DBFEB900 70000007
	ds_read_b128 a[116:119], v7 offset:48384                   // 0000000043CC: DBFEBD00 74000007
	v_mfma_f32_16x16x32_fp8_fp8 v[76:79], a[82:83], v[40:41], v[76:79]// 0000000043D4: D3F3004C 0D325152
	v_mfma_f32_16x16x32_fp8_fp8 v[80:83], a[84:85], v[40:41], v[80:83]// 0000000043DC: D3F30050 0D425154
	v_mfma_f32_16x16x32_fp8_fp8 v[84:87], a[86:87], v[40:41], v[84:87]// 0000000043E4: D3F30054 0D525156
	v_mfma_f32_16x16x32_fp8_fp8 v[88:91], a[88:89], v[40:41], v[88:91]// 0000000043EC: D3F30058 0D625158
	ds_read_b128 a[120:123], v7 offset:49408                   // 0000000043F4: DBFEC100 78000007
	ds_read_b128 a[124:127], v7 offset:50432                   // 0000000043FC: DBFEC500 7C000007
	v_mfma_f32_16x16x32_fp8_fp8 v[92:95], a[90:91], v[40:41], v[92:95]// 000000004404: D3F3005C 0D72515A
	v_mfma_f32_16x16x32_fp8_fp8 v[96:99], a[92:93], v[40:41], v[96:99]// 00000000440C: D3F30060 0D82515C
	v_mfma_f32_16x16x32_fp8_fp8 v[100:103], a[94:95], v[40:41], v[100:103]// 000000004414: D3F30064 0D92515E
	v_mfma_f32_16x16x32_fp8_fp8 v[104:107], a[96:97], v[40:41], v[104:107]// 00000000441C: D3F30068 0DA25160
	ds_read_b128 a[128:131], v7 offset:51456                   // 000000004424: DBFEC900 80000007
	ds_read_b128 a[132:135], v7 offset:52480                   // 00000000442C: DBFECD00 84000007
	v_mfma_f32_16x16x32_fp8_fp8 v[108:111], a[98:99], v[40:41], v[108:111]// 000000004434: D3F3006C 0DB25162
	v_mfma_f32_16x16x32_fp8_fp8 v[112:115], a[100:101], v[40:41], v[112:115]// 00000000443C: D3F30070 0DC25164
	v_mfma_f32_16x16x32_fp8_fp8 v[116:119], a[102:103], v[40:41], v[116:119]// 000000004444: D3F30074 0DD25166
	s_waitcnt lgkmcnt(4)                                       // 00000000444C: BF8CC47F
	v_mfma_f32_16x16x32_fp8_fp8 v[120:123], a[104:105], v[40:41], v[120:123]// 000000004450: D3F30078 0DE25168
	v_max3_f32 v24, v48, v49, v48                              // 000000004458: D1D30018 04C26330
	v_max3_f32 v24, v50, v51, v24                              // 000000004460: D1D30018 04626732
	v_max3_f32 v24, v52, v53, v24                              // 000000004468: D1D30018 04626B34
	v_max3_f32 v24, v54, v55, v24                              // 000000004470: D1D30018 04626F36
	ds_write_b32 v3, v24 offset:54528                          // 000000004478: D81AD500 00001803
	v_mfma_f32_16x16x32_fp8_fp8 v[124:127], a[106:107], v[40:41], v[124:127]// 000000004480: D3F3007C 0DF2516A
	v_mfma_f32_16x16x32_fp8_fp8 v[128:131], a[108:109], v[40:41], v[128:131]// 000000004488: D3F30080 0E02516C
	v_mfma_f32_16x16x32_fp8_fp8 v[132:135], a[110:111], v[40:41], v[132:135]// 000000004490: D3F30084 0E12516E
	v_mfma_f32_16x16x32_fp8_fp8 v[136:139], a[112:113], v[40:41], v[136:139]// 000000004498: D3F30088 0E225170
	v_mfma_f32_16x16x32_fp8_fp8 v[140:143], a[114:115], v[40:41], v[140:143]// 0000000044A0: D3F3008C 0E325172
	v_mfma_f32_16x16x32_fp8_fp8 v[144:147], a[116:117], v[40:41], v[144:147]// 0000000044A8: D3F30090 0E425174
	v_mfma_f32_16x16x32_fp8_fp8 v[148:151], a[118:119], v[40:41], v[148:151]// 0000000044B0: D3F30094 0E525176
	s_waitcnt lgkmcnt(0)                                       // 0000000044B8: BF8CC07F
	v_mfma_f32_16x16x32_fp8_fp8 v[152:155], a[120:121], v[40:41], v[152:155]// 0000000044BC: D3F30098 0E625178
	s_waitcnt lgkmcnt(0)                                       // 0000000044C4: BF8CC07F
	ds_read_b32 v20, v2 offset:54528                           // 0000000044C8: D86CD500 14000002
	ds_read_b32 v21, v2 offset:54592                           // 0000000044D0: D86CD540 15000002
	v_mfma_f32_16x16x32_fp8_fp8 a[144:147], a[122:123], v[40:41], a[144:147]// 0000000044D8: D3F38090 0E42517A
	ds_read_b32 v22, v2 offset:54656                           // 0000000044E0: D86CD580 16000002
	ds_read_b32 v23, v2 offset:54720                           // 0000000044E8: D86CD5C0 17000002
	v_mfma_f32_16x16x32_fp8_fp8 a[148:151], a[124:125], v[40:41], a[148:151]// 0000000044F0: D3F38094 0E52517C
	v_mfma_f32_16x16x32_fp8_fp8 a[152:155], a[126:127], v[40:41], a[152:155]// 0000000044F8: D3F38098 0E62517E
	v_mfma_f32_16x16x32_fp8_fp8 a[156:159], a[128:129], v[40:41], a[156:159]// 000000004500: D3F3809C 0E725180
	v_mfma_f32_16x16x32_fp8_fp8 a[160:163], a[130:131], v[40:41], a[160:163]// 000000004508: D3F380A0 0E825182
	v_mfma_f32_16x16x32_fp8_fp8 a[164:167], a[132:133], v[40:41], a[164:167]// 000000004510: D3F380A4 0E925184
	v_mfma_f32_16x16x32_fp8_fp8 a[168:171], a[134:135], v[40:41], a[168:171]// 000000004518: D3F380A8 0EA25186
	s_waitcnt lgkmcnt(0)                                       // 000000004520: BF8CC07F
	v_max3_f32 v24, v20, v21, v24                              // 000000004524: D1D30018 04622B14
	v_max3_f32 v24, v22, v23, v24                              // 00000000452C: D1D30018 04622F16
	v_mov_b32_e32 v25, 0xff7fffff                              // 000000004534: 7E3202FF FF7FFFFF
	v_cmp_eq_u32_e64 s[38:39], v25, v13                        // 00000000453C: D0CA0026 00021B19
	v_max_f32_e32 v20, v24, v13                                // 000000004544: 16281B18
	v_sub_f32_e32 v17, v13, v20                                // 000000004548: 0422290D
	v_cndmask_b32_e64 v17, v17, 0, s[38:39]                    // 00000000454C: D1000011 00990111
	v_mov_b32_e32 v13, v20                                     // 000000004554: 7E1A0314
	v_mul_f32_e32 v21, s5, v20                                 // 000000004558: 0A2A2805
	v_mul_f32_e32 v17, s5, v17                                 // 00000000455C: 0A222205
	v_exp_f32_e32 v17, v17                                     // 000000004560: 7E224111
	v_fma_f32 v48, v48, s5, -v21                               // 000000004564: D1CB0030 84540B30
	v_fma_f32 v49, v49, s5, -v21                               // 00000000456C: D1CB0031 84540B31
	v_fma_f32 v50, v50, s5, -v21                               // 000000004574: D1CB0032 84540B32
	v_fma_f32 v51, v51, s5, -v21                               // 00000000457C: D1CB0033 84540B33
	v_fma_f32 v52, v52, s5, -v21                               // 000000004584: D1CB0034 84540B34
	v_fma_f32 v53, v53, s5, -v21                               // 00000000458C: D1CB0035 84540B35
	v_fma_f32 v54, v54, s5, -v21                               // 000000004594: D1CB0036 84540B36
	v_fma_f32 v55, v55, s5, -v21                               // 00000000459C: D1CB0037 84540B37
	v_exp_f32_e32 v48, v48                                     // 0000000045A4: 7E604130
	v_exp_f32_e32 v49, v49                                     // 0000000045A8: 7E624131
	v_exp_f32_e32 v50, v50                                     // 0000000045AC: 7E644132
	v_exp_f32_e32 v51, v51                                     // 0000000045B0: 7E664133
	v_exp_f32_e32 v52, v52                                     // 0000000045B4: 7E684134
	v_exp_f32_e32 v53, v53                                     // 0000000045B8: 7E6A4135
	v_exp_f32_e32 v54, v54                                     // 0000000045BC: 7E6C4136
	v_exp_f32_e32 v55, v55                                     // 0000000045C0: 7E6E4137
	v_mul_f32_e32 v15, v17, v15                                // 0000000045C4: 0A1E1F11
	v_mov_b32_e32 v22, v48                                     // 0000000045C8: 7E2C0330
	v_add_f32_e32 v22, v49, v22                                // 0000000045CC: 022C2D31
	v_add_f32_e32 v22, v50, v22                                // 0000000045D0: 022C2D32
	v_add_f32_e32 v22, v51, v22                                // 0000000045D4: 022C2D33
	v_add_f32_e32 v22, v52, v22                                // 0000000045D8: 022C2D34
	v_add_f32_e32 v22, v53, v22                                // 0000000045DC: 022C2D35
	v_add_f32_e32 v22, v54, v22                                // 0000000045E0: 022C2D36
	v_add_f32_e32 v22, v55, v22                                // 0000000045E4: 022C2D37
	v_add_f32_e32 v15, v22, v15                                // 0000000045E8: 021E1F16
	v_cvt_pk_fp8_f32 v42, v48, v49                             // 0000000045EC: D2A2002A 00026330
	v_cvt_pk_fp8_f32 v42, v50, v51 op_sel:[0,0,1]              // 0000000045F4: D2A2402A 00026732
	v_cvt_pk_fp8_f32 v43, v52, v53                             // 0000000045FC: D2A2002B 00026B34
	v_cvt_pk_fp8_f32 v43, v54, v55 op_sel:[0,0,1]              // 000000004604: D2A2402B 00026F36
	s_nop 0                                                    // 00000000460C: BF800000
	v_mov_b32_e32 v22, v17                                     // 000000004610: 7E2C0311
	v_mov_b32_e32 v23, v17                                     // 000000004614: 7E2E0311
	v_pk_mul_f32 v[156:157], v[22:23], v[156:157]              // 000000004618: D3B1409C 18033916
	v_pk_mul_f32 v[158:159], v[22:23], v[158:159]              // 000000004620: D3B1409E 18033D16
	v_pk_mul_f32 v[160:161], v[22:23], v[160:161]              // 000000004628: D3B140A0 18034116
	v_pk_mul_f32 v[162:163], v[22:23], v[162:163]              // 000000004630: D3B140A2 18034516
	v_pk_mul_f32 v[164:165], v[22:23], v[164:165]              // 000000004638: D3B140A4 18034916
	v_pk_mul_f32 v[166:167], v[22:23], v[166:167]              // 000000004640: D3B140A6 18034D16
	v_pk_mul_f32 v[168:169], v[22:23], v[168:169]              // 000000004648: D3B140A8 18035116
	v_pk_mul_f32 v[170:171], v[22:23], v[170:171]              // 000000004650: D3B140AA 18035516
	v_pk_mul_f32 v[172:173], v[22:23], v[172:173]              // 000000004658: D3B140AC 18035916
	v_pk_mul_f32 v[174:175], v[22:23], v[174:175]              // 000000004660: D3B140AE 18035D16
	v_pk_mul_f32 v[176:177], v[22:23], v[176:177]              // 000000004668: D3B140B0 18036116
	v_pk_mul_f32 v[178:179], v[22:23], v[178:179]              // 000000004670: D3B140B2 18036516
	v_pk_mul_f32 v[180:181], v[22:23], v[180:181]              // 000000004678: D3B140B4 18036916
	v_pk_mul_f32 v[182:183], v[22:23], v[182:183]              // 000000004680: D3B140B6 18036D16
	v_pk_mul_f32 v[184:185], v[22:23], v[184:185]              // 000000004688: D3B140B8 18037116
	v_pk_mul_f32 v[186:187], v[22:23], v[186:187]              // 000000004690: D3B140BA 18037516
	v_pk_mul_f32 v[188:189], v[22:23], v[188:189]              // 000000004698: D3B140BC 18037916
	v_pk_mul_f32 v[190:191], v[22:23], v[190:191]              // 0000000046A0: D3B140BE 18037D16
	v_pk_mul_f32 v[192:193], v[22:23], v[192:193]              // 0000000046A8: D3B140C0 18038116
	v_pk_mul_f32 v[194:195], v[22:23], v[194:195]              // 0000000046B0: D3B140C2 18038516
	v_pk_mul_f32 v[196:197], v[22:23], v[196:197]              // 0000000046B8: D3B140C4 18038916
	v_pk_mul_f32 v[198:199], v[22:23], v[198:199]              // 0000000046C0: D3B140C6 18038D16
	v_pk_mul_f32 v[200:201], v[22:23], v[200:201]              // 0000000046C8: D3B140C8 18039116
	v_pk_mul_f32 v[202:203], v[22:23], v[202:203]              // 0000000046D0: D3B140CA 18039516
	v_pk_mul_f32 v[204:205], v[22:23], v[204:205]              // 0000000046D8: D3B140CC 18039916
	v_pk_mul_f32 v[206:207], v[22:23], v[206:207]              // 0000000046E0: D3B140CE 18039D16
	v_pk_mul_f32 v[208:209], v[22:23], v[208:209]              // 0000000046E8: D3B140D0 1803A116
	v_pk_mul_f32 v[210:211], v[22:23], v[210:211]              // 0000000046F0: D3B140D2 1803A516
	v_pk_mul_f32 v[212:213], v[22:23], v[212:213]              // 0000000046F8: D3B140D4 1803A916
	v_pk_mul_f32 v[214:215], v[22:23], v[214:215]              // 000000004700: D3B140D6 1803AD16
	v_pk_mul_f32 v[216:217], v[22:23], v[216:217]              // 000000004708: D3B140D8 1803B116
	v_pk_mul_f32 v[218:219], v[22:23], v[218:219]              // 000000004710: D3B140DA 1803B516
	v_pk_mul_f32 v[220:221], v[22:23], v[220:221]              // 000000004718: D3B140DC 1803B916
	v_pk_mul_f32 v[222:223], v[22:23], v[222:223]              // 000000004720: D3B140DE 1803BD16
	v_pk_mul_f32 v[224:225], v[22:23], v[224:225]              // 000000004728: D3B140E0 1803C116
	v_pk_mul_f32 v[226:227], v[22:23], v[226:227]              // 000000004730: D3B140E2 1803C516
	v_pk_mul_f32 v[228:229], v[22:23], v[228:229]              // 000000004738: D3B140E4 1803C916
	v_pk_mul_f32 v[230:231], v[22:23], v[230:231]              // 000000004740: D3B140E6 1803CD16
	v_pk_mul_f32 v[232:233], v[22:23], v[232:233]              // 000000004748: D3B140E8 1803D116
	v_pk_mul_f32 v[234:235], v[22:23], v[234:235]              // 000000004750: D3B140EA 1803D516
	v_pk_mul_f32 v[236:237], v[22:23], v[236:237]              // 000000004758: D3B140EC 1803D916
	v_pk_mul_f32 v[238:239], v[22:23], v[238:239]              // 000000004760: D3B140EE 1803DD16
	v_pk_mul_f32 v[240:241], v[22:23], v[240:241]              // 000000004768: D3B140F0 1803E116
	v_pk_mul_f32 v[242:243], v[22:23], v[242:243]              // 000000004770: D3B140F2 1803E516
	v_pk_mul_f32 v[244:245], v[22:23], v[244:245]              // 000000004778: D3B140F4 1803E916
	v_pk_mul_f32 v[246:247], v[22:23], v[246:247]              // 000000004780: D3B140F6 1803ED16
	v_pk_mul_f32 v[248:249], v[22:23], v[248:249]              // 000000004788: D3B140F8 1803F116
	v_pk_mul_f32 v[250:251], v[22:23], v[250:251]              // 000000004790: D3B140FA 1803F516
	v_pk_mul_f32 v[252:253], v[22:23], v[252:253]              // 000000004798: D3B140FC 1803F916
	v_pk_mul_f32 v[254:255], v[22:23], v[254:255]              // 0000000047A0: D3B140FE 1803FD16
	v_accvgpr_read_b32 v20, a172                               // 0000000047A8: D3D84014 180001AC
	v_accvgpr_read_b32 v21, a173                               // 0000000047B0: D3D84015 180001AD
	v_pk_mul_f32 v[20:21], v[22:23], v[20:21]                  // 0000000047B8: D3B14014 18022916
	v_accvgpr_write_b32 a172, v20                              // 0000000047C0: D3D940AC 18000114
	v_accvgpr_write_b32 a173, v21                              // 0000000047C8: D3D940AD 18000115
	v_accvgpr_read_b32 v20, a174                               // 0000000047D0: D3D84014 180001AE
	v_accvgpr_read_b32 v21, a175                               // 0000000047D8: D3D84015 180001AF
	v_pk_mul_f32 v[20:21], v[22:23], v[20:21]                  // 0000000047E0: D3B14014 18022916
	v_accvgpr_write_b32 a174, v20                              // 0000000047E8: D3D940AE 18000114
	v_accvgpr_write_b32 a175, v21                              // 0000000047F0: D3D940AF 18000115
	v_accvgpr_read_b32 v20, a176                               // 0000000047F8: D3D84014 180001B0
	v_accvgpr_read_b32 v21, a177                               // 000000004800: D3D84015 180001B1
	v_pk_mul_f32 v[20:21], v[22:23], v[20:21]                  // 000000004808: D3B14014 18022916
	v_accvgpr_write_b32 a176, v20                              // 000000004810: D3D940B0 18000114
	v_accvgpr_write_b32 a177, v21                              // 000000004818: D3D940B1 18000115
	v_accvgpr_read_b32 v20, a178                               // 000000004820: D3D84014 180001B2
	v_accvgpr_read_b32 v21, a179                               // 000000004828: D3D84015 180001B3
	v_pk_mul_f32 v[20:21], v[22:23], v[20:21]                  // 000000004830: D3B14014 18022916
	v_accvgpr_write_b32 a178, v20                              // 000000004838: D3D940B2 18000114
	v_accvgpr_write_b32 a179, v21                              // 000000004840: D3D940B3 18000115
	v_accvgpr_read_b32 v20, a180                               // 000000004848: D3D84014 180001B4
	v_accvgpr_read_b32 v21, a181                               // 000000004850: D3D84015 180001B5
	v_pk_mul_f32 v[20:21], v[22:23], v[20:21]                  // 000000004858: D3B14014 18022916
	v_accvgpr_write_b32 a180, v20                              // 000000004860: D3D940B4 18000114
	v_accvgpr_write_b32 a181, v21                              // 000000004868: D3D940B5 18000115
	v_accvgpr_read_b32 v20, a182                               // 000000004870: D3D84014 180001B6
	v_accvgpr_read_b32 v21, a183                               // 000000004878: D3D84015 180001B7
	v_pk_mul_f32 v[20:21], v[22:23], v[20:21]                  // 000000004880: D3B14014 18022916
	v_accvgpr_write_b32 a182, v20                              // 000000004888: D3D940B6 18000114
	v_accvgpr_write_b32 a183, v21                              // 000000004890: D3D940B7 18000115
	v_accvgpr_read_b32 v20, a184                               // 000000004898: D3D84014 180001B8
	v_accvgpr_read_b32 v21, a185                               // 0000000048A0: D3D84015 180001B9
	v_pk_mul_f32 v[20:21], v[22:23], v[20:21]                  // 0000000048A8: D3B14014 18022916
	v_accvgpr_write_b32 a184, v20                              // 0000000048B0: D3D940B8 18000114
	v_accvgpr_write_b32 a185, v21                              // 0000000048B8: D3D940B9 18000115
	v_accvgpr_read_b32 v20, a186                               // 0000000048C0: D3D84014 180001BA
	v_accvgpr_read_b32 v21, a187                               // 0000000048C8: D3D84015 180001BB
	v_pk_mul_f32 v[20:21], v[22:23], v[20:21]                  // 0000000048D0: D3B14014 18022916
	v_accvgpr_write_b32 a186, v20                              // 0000000048D8: D3D940BA 18000114
	v_accvgpr_write_b32 a187, v21                              // 0000000048E0: D3D940BB 18000115
	v_accvgpr_read_b32 v20, a188                               // 0000000048E8: D3D84014 180001BC
	v_accvgpr_read_b32 v21, a189                               // 0000000048F0: D3D84015 180001BD
	v_pk_mul_f32 v[20:21], v[22:23], v[20:21]                  // 0000000048F8: D3B14014 18022916
	v_accvgpr_write_b32 a188, v20                              // 000000004900: D3D940BC 18000114
	v_accvgpr_write_b32 a189, v21                              // 000000004908: D3D940BD 18000115
	v_accvgpr_read_b32 v20, a190                               // 000000004910: D3D84014 180001BE
	v_accvgpr_read_b32 v21, a191                               // 000000004918: D3D84015 180001BF
	v_pk_mul_f32 v[20:21], v[22:23], v[20:21]                  // 000000004920: D3B14014 18022916
	v_accvgpr_write_b32 a190, v20                              // 000000004928: D3D940BE 18000114
	v_accvgpr_write_b32 a191, v21                              // 000000004930: D3D940BF 18000115
	v_accvgpr_read_b32 v20, a192                               // 000000004938: D3D84014 180001C0
	v_accvgpr_read_b32 v21, a193                               // 000000004940: D3D84015 180001C1
	v_pk_mul_f32 v[20:21], v[22:23], v[20:21]                  // 000000004948: D3B14014 18022916
	v_accvgpr_write_b32 a192, v20                              // 000000004950: D3D940C0 18000114
	v_accvgpr_write_b32 a193, v21                              // 000000004958: D3D940C1 18000115
	v_accvgpr_read_b32 v20, a194                               // 000000004960: D3D84014 180001C2
	v_accvgpr_read_b32 v21, a195                               // 000000004968: D3D84015 180001C3
	v_pk_mul_f32 v[20:21], v[22:23], v[20:21]                  // 000000004970: D3B14014 18022916
	v_accvgpr_write_b32 a194, v20                              // 000000004978: D3D940C2 18000114
	v_accvgpr_write_b32 a195, v21                              // 000000004980: D3D940C3 18000115
	v_accvgpr_read_b32 v20, a196                               // 000000004988: D3D84014 180001C4
	v_accvgpr_read_b32 v21, a197                               // 000000004990: D3D84015 180001C5
	v_pk_mul_f32 v[20:21], v[22:23], v[20:21]                  // 000000004998: D3B14014 18022916
	v_accvgpr_write_b32 a196, v20                              // 0000000049A0: D3D940C4 18000114
	v_accvgpr_write_b32 a197, v21                              // 0000000049A8: D3D940C5 18000115
	v_accvgpr_read_b32 v20, a198                               // 0000000049B0: D3D84014 180001C6
	v_accvgpr_read_b32 v21, a199                               // 0000000049B8: D3D84015 180001C7
	v_pk_mul_f32 v[20:21], v[22:23], v[20:21]                  // 0000000049C0: D3B14014 18022916
	v_accvgpr_write_b32 a198, v20                              // 0000000049C8: D3D940C6 18000114
	v_accvgpr_write_b32 a199, v21                              // 0000000049D0: D3D940C7 18000115
	s_waitcnt vmcnt(18) lgkmcnt(0)                             // 0000000049D8: BF8C4072
	s_barrier                                                  // 0000000049DC: BF8A0000
	v_mfma_f32_16x16x32_fp8_fp8 v[156:159], a[72:73], v[42:43], v[156:159]// 0000000049E0: D3F3009C 0E725548
	v_mfma_f32_16x16x32_fp8_fp8 v[160:163], a[74:75], v[42:43], v[160:163]// 0000000049E8: D3F300A0 0E82554A
	ds_read_b32 v20, v5 offset:18560                           // 0000000049F0: D86C4880 14000005
	ds_read_b32 v21, v5 offset:23200                           // 0000000049F8: D86C5AA0 15000005
	ds_read_b32 v22, v5 offset:27840                           // 000000004A00: D86C6CC0 16000005
	ds_read_b32 v23, v5 offset:32480                           // 000000004A08: D86C7EE0 17000005
	v_mfma_f32_16x16x32_fp8_fp8 v[164:167], a[76:77], v[42:43], v[164:167]// 000000004A10: D3F300A4 0E92554C
	v_mfma_f32_16x16x32_fp8_fp8 v[168:171], a[78:79], v[42:43], v[168:171]// 000000004A18: D3F300A8 0EA2554E
	ds_read_b32 v24, v5 offset:18688                           // 000000004A20: D86C4900 18000005
	ds_read_b32 v25, v5 offset:23328                           // 000000004A28: D86C5B20 19000005
	ds_read_b32 v26, v5 offset:27968                           // 000000004A30: D86C6D40 1A000005
	ds_read_b32 v27, v5 offset:32608                           // 000000004A38: D86C7F60 1B000005
	v_mfma_f32_16x16x32_fp8_fp8 v[172:175], a[80:81], v[42:43], v[172:175]// 000000004A40: D3F300AC 0EB25550
	v_mfma_f32_16x16x32_fp8_fp8 v[176:179], a[82:83], v[42:43], v[176:179]// 000000004A48: D3F300B0 0EC25552
	ds_read_b128 a[72:75], v4 offset:18560                     // 000000004A50: DBFE4880 48000004
	ds_read_b128 a[76:79], v4 offset:18816                     // 000000004A58: DBFE4980 4C000004
	v_mfma_f32_16x16x32_fp8_fp8 v[180:183], a[84:85], v[42:43], v[180:183]// 000000004A60: D3F300B4 0ED25554
	v_mfma_f32_16x16x32_fp8_fp8 v[184:187], a[86:87], v[42:43], v[184:187]// 000000004A68: D3F300B8 0EE25556
	s_waitcnt lgkmcnt(2)                                       // 000000004A70: BF8CC27F
	v_perm_b32 v32, v22, v20, s52                              // 000000004A74: D1ED0020 00D22916
	v_perm_b32 v33, v22, v20, s53                              // 000000004A7C: D1ED0021 00D62916
	v_perm_b32 v34, v23, v21, s52                              // 000000004A84: D1ED0022 00D22B17
	v_perm_b32 v35, v23, v21, s53                              // 000000004A8C: D1ED0023 00D62B17
	v_perm_b32 v28, v34, v32, s54                              // 000000004A94: D1ED001C 00DA4122
	v_perm_b32 v36, v34, v32, s55                              // 000000004A9C: D1ED0024 00DE4122
	v_perm_b32 v30, v35, v33, s54                              // 000000004AA4: D1ED001E 00DA4323
	v_perm_b32 v38, v35, v33, s55                              // 000000004AAC: D1ED0026 00DE4323
	v_mfma_f32_16x16x32_fp8_fp8 v[188:191], a[88:89], v[42:43], v[188:191]// 000000004AB4: D3F300BC 0EF25558
	v_mfma_f32_16x16x32_fp8_fp8 v[192:195], a[90:91], v[42:43], v[192:195]// 000000004ABC: D3F300C0 0F02555A
	v_perm_b32 v32, v26, v24, s52                              // 000000004AC4: D1ED0020 00D2311A
	v_perm_b32 v33, v26, v24, s53                              // 000000004ACC: D1ED0021 00D6311A
	v_perm_b32 v34, v27, v25, s52                              // 000000004AD4: D1ED0022 00D2331B
	v_perm_b32 v35, v27, v25, s53                              // 000000004ADC: D1ED0023 00D6331B
	v_perm_b32 v29, v34, v32, s54                              // 000000004AE4: D1ED001D 00DA4122
	v_perm_b32 v37, v34, v32, s55                              // 000000004AEC: D1ED0025 00DE4122
	v_perm_b32 v31, v35, v33, s54                              // 000000004AF4: D1ED001F 00DA4323
	v_perm_b32 v39, v35, v33, s55                              // 000000004AFC: D1ED0027 00DE4323
	v_mfma_f32_16x16x32_fp8_fp8 v[196:199], a[92:93], v[42:43], v[196:199]// 000000004B04: D3F300C4 0F12555C
	v_mfma_f32_16x16x32_fp8_fp8 v[200:203], a[94:95], v[42:43], v[200:203]// 000000004B0C: D3F300C8 0F22555E
	ds_write_b128 v6, v[28:31] offset:37120                    // 000000004B14: D9BE9100 00001C06
	v_mfma_f32_16x16x32_fp8_fp8 v[204:207], a[96:97], v[42:43], v[204:207]// 000000004B1C: D3F300CC 0F325560
	v_mfma_f32_16x16x32_fp8_fp8 v[208:211], a[98:99], v[42:43], v[208:211]// 000000004B24: D3F300D0 0F425562
	ds_write_b128 v6, v[36:39] offset:38144                    // 000000004B2C: D9BE9500 00002406
	v_mfma_f32_16x16x32_fp8_fp8 v[212:215], a[100:101], v[42:43], v[212:215]// 000000004B34: D3F300D4 0F525564
	v_mfma_f32_16x16x32_fp8_fp8 v[216:219], a[102:103], v[42:43], v[216:219]// 000000004B3C: D3F300D8 0F625566
	v_mfma_f32_16x16x32_fp8_fp8 v[220:223], a[104:105], v[42:43], v[220:223]// 000000004B44: D3F300DC 0F725568
	v_mfma_f32_16x16x32_fp8_fp8 v[224:227], a[106:107], v[42:43], v[224:227]// 000000004B4C: D3F300E0 0F82556A
	ds_read_b32 v20, v5 offset:19584                           // 000000004B54: D86C4C80 14000005
	ds_read_b32 v21, v5 offset:24224                           // 000000004B5C: D86C5EA0 15000005
	ds_read_b32 v22, v5 offset:28864                           // 000000004B64: D86C70C0 16000005
	ds_read_b32 v23, v5 offset:33504                           // 000000004B6C: D86C82E0 17000005
	v_mfma_f32_16x16x32_fp8_fp8 v[228:231], a[108:109], v[42:43], v[228:231]// 000000004B74: D3F300E4 0F92556C
	v_mfma_f32_16x16x32_fp8_fp8 v[232:235], a[110:111], v[42:43], v[232:235]// 000000004B7C: D3F300E8 0FA2556E
	ds_read_b32 v24, v5 offset:19712                           // 000000004B84: D86C4D00 18000005
	ds_read_b32 v25, v5 offset:24352                           // 000000004B8C: D86C5F20 19000005
	ds_read_b32 v26, v5 offset:28992                           // 000000004B94: D86C7140 1A000005
	ds_read_b32 v27, v5 offset:33632                           // 000000004B9C: D86C8360 1B000005
	v_mfma_f32_16x16x32_fp8_fp8 v[236:239], a[112:113], v[42:43], v[236:239]// 000000004BA4: D3F300EC 0FB25570
	v_mfma_f32_16x16x32_fp8_fp8 v[240:243], a[114:115], v[42:43], v[240:243]// 000000004BAC: D3F300F0 0FC25572
	ds_read_b128 a[80:83], v4 offset:19072                     // 000000004BB4: DBFE4A80 50000004
	ds_read_b128 a[84:87], v4 offset:19328                     // 000000004BBC: DBFE4B80 54000004
	v_mfma_f32_16x16x32_fp8_fp8 v[244:247], a[116:117], v[42:43], v[244:247]// 000000004BC4: D3F300F4 0FD25574
	v_mfma_f32_16x16x32_fp8_fp8 v[248:251], a[118:119], v[42:43], v[248:251]// 000000004BCC: D3F300F8 0FE25576
	v_mfma_f32_16x16x32_fp8_fp8 v[252:255], a[120:121], v[42:43], v[252:255]// 000000004BD4: D3F300FC 0FF25578
	v_mfma_f32_16x16x32_fp8_fp8 a[172:175], a[122:123], v[42:43], a[172:175]// 000000004BDC: D3F380AC 0EB2557A
	ds_read_b128 a[88:91], v4 offset:19584                     // 000000004BE4: DBFE4C80 58000004
	ds_read_b128 a[92:95], v4 offset:19840                     // 000000004BEC: DBFE4D80 5C000004
	v_mfma_f32_16x16x32_fp8_fp8 a[176:179], a[124:125], v[42:43], a[176:179]// 000000004BF4: D3F380B0 0EC2557C
	v_mfma_f32_16x16x32_fp8_fp8 a[180:183], a[126:127], v[42:43], a[180:183]// 000000004BFC: D3F380B4 0ED2557E
	v_mfma_f32_16x16x32_fp8_fp8 a[184:187], a[128:129], v[42:43], a[184:187]// 000000004C04: D3F380B8 0EE25580
	v_mfma_f32_16x16x32_fp8_fp8 a[188:191], a[130:131], v[42:43], a[188:191]// 000000004C0C: D3F380BC 0EF25582
	ds_read_b128 a[96:99], v4 offset:20096                     // 000000004C14: DBFE4E80 60000004
	ds_read_b128 a[100:103], v4 offset:20352                   // 000000004C1C: DBFE4F80 64000004
	v_mfma_f32_16x16x32_fp8_fp8 a[192:195], a[132:133], v[42:43], a[192:195]// 000000004C24: D3F380C0 0F025584
	v_mfma_f32_16x16x32_fp8_fp8 a[196:199], a[134:135], v[42:43], a[196:199]// 000000004C2C: D3F380C4 0F125586
	s_nop 0                                                    // 000000004C34: BF800000
	s_addk_i32 s70, 0x1                                        // 000000004C38: B7460001
	s_cmp_lt_i32 s70, s71                                      // 000000004C3C: BF044746
	s_cbranch_scc0 label_0EF2                                  // 000000004C40: BF8404A1
	s_waitcnt lgkmcnt(4)                                       // 000000004C44: BF8CC47F
	v_mfma_f32_16x16x32_fp8_fp8 v[40:43], a[72:73], a[0:1], 0  // 000000004C48: D3F30028 1A020148
	ds_read_b128 a[104:107], v4 offset:20608                   // 000000004C50: DBFE5080 68000004
	ds_read_b128 a[108:111], v4 offset:18688                   // 000000004C58: DBFE4900 6C000004
	v_mfma_f32_16x16x32_fp8_fp8 v[40:43], a[74:75], a[2:3], v[40:43]// 000000004C60: D3F30028 1CA2054A
	buffer_load_dword v11, v8, s[24:27], 0 offen               // 000000004C68: E0501000 80060B08
	v_mfma_f32_16x16x32_fp8_fp8 v[40:43], a[76:77], a[4:5], v[40:43]// 000000004C70: D3F30028 1CA2094C
	v_mfma_f32_16x16x32_fp8_fp8 v[40:43], a[78:79], a[6:7], v[40:43]// 000000004C78: D3F30028 1CA20D4E
	v_mfma_f32_16x16x32_fp8_fp8 v[40:43], a[80:81], a[8:9], v[40:43]// 000000004C80: D3F30028 1CA21150
	ds_read_b128 a[112:115], v4 offset:18944                   // 000000004C88: DBFE4A00 70000004
	ds_read_b128 a[116:119], v4 offset:19200                   // 000000004C90: DBFE4B00 74000004
	v_mfma_f32_16x16x32_fp8_fp8 v[40:43], a[82:83], a[10:11], v[40:43]// 000000004C98: D3F30028 1CA21552
	v_mfma_f32_16x16x32_fp8_fp8 v[40:43], a[84:85], a[12:13], v[40:43]// 000000004CA0: D3F30028 1CA21954
	v_mfma_f32_16x16x32_fp8_fp8 v[40:43], a[86:87], a[14:15], v[40:43]// 000000004CA8: D3F30028 1CA21D56
	s_waitcnt lgkmcnt(4)                                       // 000000004CB0: BF8CC47F
	v_mfma_f32_16x16x32_fp8_fp8 v[40:43], a[88:89], a[16:17], v[40:43]// 000000004CB4: D3F30028 1CA22158
	ds_read_b128 a[120:123], v4 offset:19456                   // 000000004CBC: DBFE4C00 78000004
	ds_read_b128 a[124:127], v4 offset:19712                   // 000000004CC4: DBFE4D00 7C000004
	v_mfma_f32_16x16x32_fp8_fp8 v[40:43], a[90:91], a[18:19], v[40:43]// 000000004CCC: D3F30028 1CA2255A
	v_mfma_f32_16x16x32_fp8_fp8 v[40:43], a[92:93], a[20:21], v[40:43]// 000000004CD4: D3F30028 1CA2295C
	v_mfma_f32_16x16x32_fp8_fp8 v[40:43], a[94:95], a[22:23], v[40:43]// 000000004CDC: D3F30028 1CA22D5E
	v_mfma_f32_16x16x32_fp8_fp8 v[40:43], a[96:97], a[24:25], v[40:43]// 000000004CE4: D3F30028 1CA23160
	ds_read_b128 a[128:131], v4 offset:19968                   // 000000004CEC: DBFE4E00 80000004
	ds_read_b128 a[132:135], v4 offset:20224                   // 000000004CF4: DBFE4F00 84000004
	v_mfma_f32_16x16x32_fp8_fp8 v[40:43], a[98:99], a[26:27], v[40:43]// 000000004CFC: D3F30028 1CA23562
	v_mfma_f32_16x16x32_fp8_fp8 v[40:43], a[100:101], a[28:29], v[40:43]// 000000004D04: D3F30028 1CA23964
	v_mfma_f32_16x16x32_fp8_fp8 v[40:43], a[102:103], a[30:31], v[40:43]// 000000004D0C: D3F30028 1CA23D66
	s_waitcnt lgkmcnt(4)                                       // 000000004D14: BF8CC47F
	s_barrier                                                  // 000000004D18: BF8A0000
	v_mfma_f32_16x16x32_fp8_fp8 v[40:43], a[104:105], a[32:33], v[40:43]// 000000004D1C: D3F30028 1CA24168
	ds_read_b128 a[136:139], v4 offset:20480                   // 000000004D24: DBFE5000 88000004
	ds_read_b128 a[140:143], v4 offset:20736                   // 000000004D2C: DBFE5100 8C000004
	v_mfma_f32_16x16x32_fp8_fp8 v[40:43], a[106:107], a[34:35], v[40:43]// 000000004D34: D3F30028 1CA2456A
	v_mfma_f32_16x16x32_fp8_fp8 v[44:47], a[108:109], a[0:1], 0// 000000004D3C: D3F3002C 1A02016C
	v_perm_b32 v32, v22, v20, s52                              // 000000004D44: D1ED0020 00D22916
	v_perm_b32 v33, v22, v20, s53                              // 000000004D4C: D1ED0021 00D62916
	v_perm_b32 v34, v23, v21, s52                              // 000000004D54: D1ED0022 00D22B17
	v_perm_b32 v35, v23, v21, s53                              // 000000004D5C: D1ED0023 00D62B17
	v_perm_b32 v28, v34, v32, s54                              // 000000004D64: D1ED001C 00DA4122
	v_perm_b32 v36, v34, v32, s55                              // 000000004D6C: D1ED0024 00DE4122
	v_perm_b32 v30, v35, v33, s54                              // 000000004D74: D1ED001E 00DA4323
	v_perm_b32 v38, v35, v33, s55                              // 000000004D7C: D1ED0026 00DE4323
	v_mfma_f32_16x16x32_fp8_fp8 v[44:47], a[110:111], a[2:3], v[44:47]// 000000004D84: D3F3002C 1CB2056E
	buffer_load_dword v18, s[20:23], 0 offen lds               // 000000004D8C: E0511000 80050012
	s_add_u32 m0, 0, s37                                       // 000000004D94: 807C2580
	v_mfma_f32_16x16x32_fp8_fp8 v[44:47], a[112:113], a[4:5], v[44:47]// 000000004D98: D3F3002C 1CB20970
	v_perm_b32 v32, v26, v24, s52                              // 000000004DA0: D1ED0020 00D2311A
	v_perm_b32 v33, v26, v24, s53                              // 000000004DA8: D1ED0021 00D6311A
	v_perm_b32 v34, v27, v25, s52                              // 000000004DB0: D1ED0022 00D2331B
	v_perm_b32 v35, v27, v25, s53                              // 000000004DB8: D1ED0023 00D6331B
	v_perm_b32 v29, v34, v32, s54                              // 000000004DC0: D1ED001D 00DA4122
	v_perm_b32 v37, v34, v32, s55                              // 000000004DC8: D1ED0025 00DE4122
	v_perm_b32 v31, v35, v33, s54                              // 000000004DD0: D1ED001F 00DA4323
	v_perm_b32 v39, v35, v33, s55                              // 000000004DD8: D1ED0027 00DE4323
	v_mfma_f32_16x16x32_fp8_fp8 v[44:47], a[114:115], a[6:7], v[44:47]// 000000004DE0: D3F3002C 1CB20D72
	buffer_load_dword v19, s[20:23], 0 offen lds               // 000000004DE8: E0511000 80050013
	s_add_u32 m0, 0xc0, s36                                    // 000000004DF0: 807C24FF 000000C0
	v_mfma_f32_16x16x32_fp8_fp8 v[44:47], a[116:117], a[8:9], v[44:47]// 000000004DF8: D3F3002C 1CB21174
	ds_write_b128 v6, v[28:31] offset:45312                    // 000000004E00: D9BEB100 00001C06
	v_mfma_f32_16x16x32_fp8_fp8 v[44:47], a[118:119], a[10:11], v[44:47]// 000000004E08: D3F3002C 1CB21576
	buffer_load_dword v18, s[20:23], 0 offen offset:64 lds     // 000000004E10: E0511040 80050012
	s_add_u32 m0, 0xc0, s37                                    // 000000004E18: 807C25FF 000000C0
	s_waitcnt lgkmcnt(1)                                       // 000000004E20: BF8CC17F
	v_mfma_f32_16x16x32_fp8_fp8 v[44:47], a[120:121], a[12:13], v[44:47]// 000000004E24: D3F3002C 1CB21978
	ds_write_b128 v6, v[36:39] offset:46336                    // 000000004E2C: D9BEB500 00002406
	v_mfma_f32_16x16x32_fp8_fp8 v[44:47], a[122:123], a[14:15], v[44:47]// 000000004E34: D3F3002C 1CB21D7A
	buffer_load_dword v19, s[20:23], 0 offen offset:64 lds     // 000000004E3C: E0511040 80050013
	s_add_u32 m0, 0x180, s36                                   // 000000004E44: 807C24FF 00000180
	v_mfma_f32_16x16x32_fp8_fp8 v[44:47], a[124:125], a[16:17], v[44:47]// 000000004E4C: D3F3002C 1CB2217C
	v_mfma_f32_16x16x32_fp8_fp8 v[44:47], a[126:127], a[18:19], v[44:47]// 000000004E54: D3F3002C 1CB2257E
	buffer_load_dword v18, s[20:23], 0 offen offset:128 lds    // 000000004E5C: E0511080 80050012
	s_add_u32 m0, 0x180, s37                                   // 000000004E64: 807C25FF 00000180
	v_mfma_f32_16x16x32_fp8_fp8 v[44:47], a[128:129], a[20:21], v[44:47]// 000000004E6C: D3F3002C 1CB22980
	v_mfma_f32_16x16x32_fp8_fp8 v[44:47], a[130:131], a[22:23], v[44:47]// 000000004E74: D3F3002C 1CB22D82
	buffer_load_dword v19, s[20:23], 0 offen offset:128 lds    // 000000004E7C: E0511080 80050013
	s_add_u32 m0, 0x240, s36                                   // 000000004E84: 807C24FF 00000240
	v_mfma_f32_16x16x32_fp8_fp8 v[44:47], a[132:133], a[24:25], v[44:47]// 000000004E8C: D3F3002C 1CB23184
	v_mfma_f32_16x16x32_fp8_fp8 v[44:47], a[134:135], a[26:27], v[44:47]// 000000004E94: D3F3002C 1CB23586
	buffer_load_dword v18, s[20:23], 0 offen offset:192 lds    // 000000004E9C: E05110C0 80050012
	s_add_u32 m0, 0x240, s37                                   // 000000004EA4: 807C25FF 00000240
	v_mfma_f32_16x16x32_fp8_fp8 v[44:47], a[136:137], a[28:29], v[44:47]// 000000004EAC: D3F3002C 1CB23988
	v_mfma_f32_16x16x32_fp8_fp8 v[44:47], a[138:139], a[30:31], v[44:47]// 000000004EB4: D3F3002C 1CB23D8A
	buffer_load_dword v19, s[20:23], 0 offen offset:192 lds    // 000000004EBC: E05110C0 80050013
	s_add_u32 m0, 0x300, s36                                   // 000000004EC4: 807C24FF 00000300
	v_mfma_f32_16x16x32_fp8_fp8 v[44:47], a[140:141], a[32:33], v[44:47]// 000000004ECC: D3F3002C 1CB2418C
	v_mfma_f32_16x16x32_fp8_fp8 v[44:47], a[142:143], a[34:35], v[44:47]// 000000004ED4: D3F3002C 1CB2458E
	buffer_load_dword v18, s[20:23], 0 offen offset:256 lds    // 000000004EDC: E0511100 80050012
	s_add_u32 m0, 0x300, s37                                   // 000000004EE4: 807C25FF 00000300
	v_add_u32_e32 v8, s73, v8                                  // 000000004EEC: 68101049
	s_waitcnt lgkmcnt(0)                                       // 000000004EF0: BF8CC07F
	s_barrier                                                  // 000000004EF4: BF8A0000
	v_mfma_f32_16x16x32_fp8_fp8 v[48:51], a[72:73], a[36:37], 0// 000000004EF8: D3F30030 1A024948
	v_mfma_f32_16x16x32_fp8_fp8 v[48:51], a[74:75], a[38:39], v[48:51]// 000000004F00: D3F30030 1CC24D4A
	v_max3_f32 v24, v40, v41, v40                              // 000000004F08: D1D30018 04A25328
	v_max3_f32 v24, v42, v43, v24                              // 000000004F10: D1D30018 0462572A
	v_max3_f32 v24, v44, v45, v24                              // 000000004F18: D1D30018 04625B2C
	v_max3_f32 v24, v46, v47, v24                              // 000000004F20: D1D30018 04625F2E
	ds_write_b32 v3, v24 offset:53504                          // 000000004F28: D81AD100 00001803
	v_mfma_f32_16x16x32_fp8_fp8 v[48:51], a[76:77], a[40:41], v[48:51]// 000000004F30: D3F30030 1CC2514C
	v_mfma_f32_16x16x32_fp8_fp8 v[48:51], a[78:79], a[42:43], v[48:51]// 000000004F38: D3F30030 1CC2554E
	buffer_load_dword v19, s[20:23], 0 offen offset:256 lds    // 000000004F40: E0511100 80050013
	s_add_u32 m0, 0x3c0, s36                                   // 000000004F48: 807C24FF 000003C0
	v_mfma_f32_16x16x32_fp8_fp8 v[48:51], a[80:81], a[44:45], v[48:51]// 000000004F50: D3F30030 1CC25950
	v_mfma_f32_16x16x32_fp8_fp8 v[48:51], a[82:83], a[46:47], v[48:51]// 000000004F58: D3F30030 1CC25D52
	buffer_load_dword v18, s[20:23], 0 offen offset:320 lds    // 000000004F60: E0511140 80050012
	s_add_u32 m0, 0x3c0, s37                                   // 000000004F68: 807C25FF 000003C0
	v_mfma_f32_16x16x32_fp8_fp8 v[48:51], a[84:85], a[48:49], v[48:51]// 000000004F70: D3F30030 1CC26154
	s_waitcnt lgkmcnt(0)                                       // 000000004F78: BF8CC07F
	ds_read_b32 v20, v2 offset:53504                           // 000000004F7C: D86CD100 14000002
	ds_read_b32 v21, v2 offset:53568                           // 000000004F84: D86CD140 15000002
	v_mfma_f32_16x16x32_fp8_fp8 v[48:51], a[86:87], a[50:51], v[48:51]// 000000004F8C: D3F30030 1CC26556
	ds_read_b32 v22, v2 offset:53632                           // 000000004F94: D86CD180 16000002
	ds_read_b32 v23, v2 offset:53696                           // 000000004F9C: D86CD1C0 17000002
	v_mfma_f32_16x16x32_fp8_fp8 v[48:51], a[88:89], a[52:53], v[48:51]// 000000004FA4: D3F30030 1CC26958
	v_mfma_f32_16x16x32_fp8_fp8 v[48:51], a[90:91], a[54:55], v[48:51]// 000000004FAC: D3F30030 1CC26D5A
	buffer_load_dword v19, s[20:23], 0 offen offset:320 lds    // 000000004FB4: E0511140 80050013
	s_add_u32 m0, 0x480, s36                                   // 000000004FBC: 807C24FF 00000480
	v_mfma_f32_16x16x32_fp8_fp8 v[48:51], a[92:93], a[56:57], v[48:51]// 000000004FC4: D3F30030 1CC2715C
	v_mfma_f32_16x16x32_fp8_fp8 v[48:51], a[94:95], a[58:59], v[48:51]// 000000004FCC: D3F30030 1CC2755E
	buffer_load_dword v18, s[20:23], 0 offen offset:384 lds    // 000000004FD4: E0511180 80050012
	s_add_u32 m0, 0x480, s37                                   // 000000004FDC: 807C25FF 00000480
	v_mfma_f32_16x16x32_fp8_fp8 v[48:51], a[96:97], a[60:61], v[48:51]// 000000004FE4: D3F30030 1CC27960
	v_mfma_f32_16x16x32_fp8_fp8 v[48:51], a[98:99], a[62:63], v[48:51]// 000000004FEC: D3F30030 1CC27D62
	buffer_load_dword v19, s[20:23], 0 offen offset:384 lds    // 000000004FF4: E0511180 80050013
	s_add_u32 m0, 0x540, s36                                   // 000000004FFC: 807C24FF 00000540
	v_mfma_f32_16x16x32_fp8_fp8 v[48:51], a[100:101], a[64:65], v[48:51]// 000000005004: D3F30030 1CC28164
	s_waitcnt lgkmcnt(0)                                       // 00000000500C: BF8CC07F
	v_max3_f32 v24, v20, v21, v24                              // 000000005010: D1D30018 04622B14
	v_max3_f32 v24, v22, v23, v24                              // 000000005018: D1D30018 04622F16
	v_mfma_f32_16x16x32_fp8_fp8 v[48:51], a[102:103], a[66:67], v[48:51]// 000000005020: D3F30030 1CC28566
	v_mfma_f32_16x16x32_fp8_fp8 v[48:51], a[104:105], a[68:69], v[48:51]// 000000005028: D3F30030 1CC28968
	v_mfma_f32_16x16x32_fp8_fp8 v[48:51], a[106:107], a[70:71], v[48:51]// 000000005030: D3F30030 1CC28D6A
	buffer_load_dword v18, s[20:23], 0 offen offset:448 lds    // 000000005038: E05111C0 80050012
	s_add_u32 m0, 0x540, s37                                   // 000000005040: 807C25FF 00000540
	v_mfma_f32_16x16x32_fp8_fp8 v[52:55], a[108:109], a[36:37], 0// 000000005048: D3F30034 1A02496C
	v_mfma_f32_16x16x32_fp8_fp8 v[52:55], a[110:111], a[38:39], v[52:55]// 000000005050: D3F30034 1CD24D6E
	buffer_load_dword v19, s[20:23], 0 offen offset:448 lds    // 000000005058: E05111C0 80050013
	s_add_u32 m0, 0x600, s36                                   // 000000005060: 807C24FF 00000600
	v_mfma_f32_16x16x32_fp8_fp8 v[52:55], a[112:113], a[40:41], v[52:55]// 000000005068: D3F30034 1CD25170
	ds_read_b128 a[72:75], v7 offset:37120                     // 000000005070: DBFE9100 48000007
	ds_read_b128 a[76:79], v7 offset:38144                     // 000000005078: DBFE9500 4C000007
	v_mfma_f32_16x16x32_fp8_fp8 v[52:55], a[114:115], a[42:43], v[52:55]// 000000005080: D3F30034 1CD25572
	buffer_load_dword v18, s[20:23], 0 offen offset:512 lds    // 000000005088: E0511200 80050012
	s_add_u32 m0, 0x600, s37                                   // 000000005090: 807C25FF 00000600
	v_mfma_f32_16x16x32_fp8_fp8 v[52:55], a[116:117], a[44:45], v[52:55]// 000000005098: D3F30034 1CD25974
	v_mfma_f32_16x16x32_fp8_fp8 v[52:55], a[118:119], a[46:47], v[52:55]// 0000000050A0: D3F30034 1CD25D76
	v_mfma_f32_16x16x32_fp8_fp8 v[52:55], a[120:121], a[48:49], v[52:55]// 0000000050A8: D3F30034 1CD26178
	ds_read_b128 a[80:83], v7 offset:39168                     // 0000000050B0: DBFE9900 50000007
	ds_read_b128 a[84:87], v7 offset:40192                     // 0000000050B8: DBFE9D00 54000007
	v_mfma_f32_16x16x32_fp8_fp8 v[52:55], a[122:123], a[50:51], v[52:55]// 0000000050C0: D3F30034 1CD2657A
	buffer_load_dword v19, s[20:23], 0 offen offset:512 lds    // 0000000050C8: E0511200 80050013
	s_add_u32 m0, 0x6c0, s36                                   // 0000000050D0: 807C24FF 000006C0
	v_mfma_f32_16x16x32_fp8_fp8 v[52:55], a[124:125], a[52:53], v[52:55]// 0000000050D8: D3F30034 1CD2697C
	v_mfma_f32_16x16x32_fp8_fp8 v[52:55], a[126:127], a[54:55], v[52:55]// 0000000050E0: D3F30034 1CD26D7E
	v_mfma_f32_16x16x32_fp8_fp8 v[52:55], a[128:129], a[56:57], v[52:55]// 0000000050E8: D3F30034 1CD27180
	ds_read_b128 a[88:91], v7 offset:41216                     // 0000000050F0: DBFEA100 58000007
	ds_read_b128 a[92:95], v7 offset:42240                     // 0000000050F8: DBFEA500 5C000007
	v_mfma_f32_16x16x32_fp8_fp8 v[52:55], a[130:131], a[58:59], v[52:55]// 000000005100: D3F30034 1CD27582
	v_mfma_f32_16x16x32_fp8_fp8 v[52:55], a[132:133], a[60:61], v[52:55]// 000000005108: D3F30034 1CD27984
	v_mfma_f32_16x16x32_fp8_fp8 v[52:55], a[134:135], a[62:63], v[52:55]// 000000005110: D3F30034 1CD27D86
	v_mfma_f32_16x16x32_fp8_fp8 v[52:55], a[136:137], a[64:65], v[52:55]// 000000005118: D3F30034 1CD28188
	ds_read_b128 a[96:99], v7 offset:43264                     // 000000005120: DBFEA900 60000007
	ds_read_b128 a[100:103], v7 offset:44288                   // 000000005128: DBFEAD00 64000007
	v_mfma_f32_16x16x32_fp8_fp8 v[52:55], a[138:139], a[66:67], v[52:55]// 000000005130: D3F30034 1CD2858A
	v_mfma_f32_16x16x32_fp8_fp8 v[52:55], a[140:141], a[68:69], v[52:55]// 000000005138: D3F30034 1CD2898C
	v_mfma_f32_16x16x32_fp8_fp8 v[52:55], a[142:143], a[70:71], v[52:55]// 000000005140: D3F30034 1CD28D8E
	v_mov_b32_e32 v25, 0xff7fffff                              // 000000005148: 7E3202FF FF7FFFFF
	v_cmp_eq_u32_e64 s[38:39], v25, v12                        // 000000005150: D0CA0026 00021919
	v_max_f32_e32 v20, v24, v12                                // 000000005158: 16281918
	v_sub_f32_e32 v16, v12, v20                                // 00000000515C: 0420290C
	v_cndmask_b32_e64 v16, v16, 0, s[38:39]                    // 000000005160: D1000010 00990110
	v_mov_b32_e32 v12, v20                                     // 000000005168: 7E180314
	v_mul_f32_e32 v21, s5, v20                                 // 00000000516C: 0A2A2805
	v_mul_f32_e32 v16, s5, v16                                 // 000000005170: 0A202005
	v_exp_f32_e32 v16, v16                                     // 000000005174: 7E204110
	v_fma_f32 v40, v40, s5, -v21                               // 000000005178: D1CB0028 84540B28
	v_fma_f32 v41, v41, s5, -v21                               // 000000005180: D1CB0029 84540B29
	v_fma_f32 v42, v42, s5, -v21                               // 000000005188: D1CB002A 84540B2A
	v_fma_f32 v43, v43, s5, -v21                               // 000000005190: D1CB002B 84540B2B
	v_fma_f32 v44, v44, s5, -v21                               // 000000005198: D1CB002C 84540B2C
	v_fma_f32 v45, v45, s5, -v21                               // 0000000051A0: D1CB002D 84540B2D
	v_fma_f32 v46, v46, s5, -v21                               // 0000000051A8: D1CB002E 84540B2E
	v_fma_f32 v47, v47, s5, -v21                               // 0000000051B0: D1CB002F 84540B2F
	v_exp_f32_e32 v40, v40                                     // 0000000051B8: 7E504128
	v_exp_f32_e32 v41, v41                                     // 0000000051BC: 7E524129
	v_exp_f32_e32 v42, v42                                     // 0000000051C0: 7E54412A
	v_exp_f32_e32 v43, v43                                     // 0000000051C4: 7E56412B
	v_exp_f32_e32 v44, v44                                     // 0000000051C8: 7E58412C
	v_exp_f32_e32 v45, v45                                     // 0000000051CC: 7E5A412D
	v_exp_f32_e32 v46, v46                                     // 0000000051D0: 7E5C412E
	v_exp_f32_e32 v47, v47                                     // 0000000051D4: 7E5E412F
	v_mul_f32_e32 v14, v16, v14                                // 0000000051D8: 0A1C1D10
	v_mov_b32_e32 v22, v40                                     // 0000000051DC: 7E2C0328
	v_add_f32_e32 v22, v41, v22                                // 0000000051E0: 022C2D29
	v_add_f32_e32 v22, v42, v22                                // 0000000051E4: 022C2D2A
	v_add_f32_e32 v22, v43, v22                                // 0000000051E8: 022C2D2B
	v_add_f32_e32 v22, v44, v22                                // 0000000051EC: 022C2D2C
	v_add_f32_e32 v22, v45, v22                                // 0000000051F0: 022C2D2D
	v_add_f32_e32 v22, v46, v22                                // 0000000051F4: 022C2D2E
	v_add_f32_e32 v22, v47, v22                                // 0000000051F8: 022C2D2F
	v_add_f32_e32 v14, v22, v14                                // 0000000051FC: 021C1D16
	v_cvt_pk_fp8_f32 v40, v40, v41                             // 000000005200: D2A20028 00025328
	v_cvt_pk_fp8_f32 v40, v42, v43 op_sel:[0,0,1]              // 000000005208: D2A24028 0002572A
	v_cvt_pk_fp8_f32 v41, v44, v45                             // 000000005210: D2A20029 00025B2C
	v_cvt_pk_fp8_f32 v41, v46, v47 op_sel:[0,0,1]              // 000000005218: D2A24029 00025F2E
	s_nop 0                                                    // 000000005220: BF800000
	v_mul_u32_u24_dpp v18, v10, v9 row_newbcast:0 row_mask:0xf bank_mask:0xf// 000000005224: 102412FA FF01500A
	v_mul_u32_u24_dpp v19, v10, v9 row_newbcast:8 row_mask:0xf bank_mask:0xf// 00000000522C: 102612FA FF01580A
	v_add_u32_e32 v18, v18, v1                                 // 000000005234: 68240312
	v_add_u32_e32 v19, v19, v1                                 // 000000005238: 68260313
	s_mov_b32 m0, s34                                          // 00000000523C: BEFC0022
	v_mov_b32_e32 v22, v16                                     // 000000005240: 7E2C0310
	v_mov_b32_e32 v23, v16                                     // 000000005244: 7E2E0310
	v_pk_mul_f32 v[56:57], v[22:23], v[56:57]                  // 000000005248: D3B14038 18027116
	v_pk_mul_f32 v[58:59], v[22:23], v[58:59]                  // 000000005250: D3B1403A 18027516
	v_pk_mul_f32 v[60:61], v[22:23], v[60:61]                  // 000000005258: D3B1403C 18027916
	v_pk_mul_f32 v[62:63], v[22:23], v[62:63]                  // 000000005260: D3B1403E 18027D16
	v_pk_mul_f32 v[64:65], v[22:23], v[64:65]                  // 000000005268: D3B14040 18028116
	v_pk_mul_f32 v[66:67], v[22:23], v[66:67]                  // 000000005270: D3B14042 18028516
	v_pk_mul_f32 v[68:69], v[22:23], v[68:69]                  // 000000005278: D3B14044 18028916
	v_pk_mul_f32 v[70:71], v[22:23], v[70:71]                  // 000000005280: D3B14046 18028D16
	v_pk_mul_f32 v[72:73], v[22:23], v[72:73]                  // 000000005288: D3B14048 18029116
	v_pk_mul_f32 v[74:75], v[22:23], v[74:75]                  // 000000005290: D3B1404A 18029516
	v_pk_mul_f32 v[76:77], v[22:23], v[76:77]                  // 000000005298: D3B1404C 18029916
	v_pk_mul_f32 v[78:79], v[22:23], v[78:79]                  // 0000000052A0: D3B1404E 18029D16
	v_pk_mul_f32 v[80:81], v[22:23], v[80:81]                  // 0000000052A8: D3B14050 1802A116
	v_pk_mul_f32 v[82:83], v[22:23], v[82:83]                  // 0000000052B0: D3B14052 1802A516
	v_pk_mul_f32 v[84:85], v[22:23], v[84:85]                  // 0000000052B8: D3B14054 1802A916
	v_pk_mul_f32 v[86:87], v[22:23], v[86:87]                  // 0000000052C0: D3B14056 1802AD16
	v_pk_mul_f32 v[88:89], v[22:23], v[88:89]                  // 0000000052C8: D3B14058 1802B116
	v_pk_mul_f32 v[90:91], v[22:23], v[90:91]                  // 0000000052D0: D3B1405A 1802B516
	v_pk_mul_f32 v[92:93], v[22:23], v[92:93]                  // 0000000052D8: D3B1405C 1802B916
	v_pk_mul_f32 v[94:95], v[22:23], v[94:95]                  // 0000000052E0: D3B1405E 1802BD16
	v_pk_mul_f32 v[96:97], v[22:23], v[96:97]                  // 0000000052E8: D3B14060 1802C116
	v_pk_mul_f32 v[98:99], v[22:23], v[98:99]                  // 0000000052F0: D3B14062 1802C516
	v_pk_mul_f32 v[100:101], v[22:23], v[100:101]              // 0000000052F8: D3B14064 1802C916
	v_pk_mul_f32 v[102:103], v[22:23], v[102:103]              // 000000005300: D3B14066 1802CD16
	v_pk_mul_f32 v[104:105], v[22:23], v[104:105]              // 000000005308: D3B14068 1802D116
	v_pk_mul_f32 v[106:107], v[22:23], v[106:107]              // 000000005310: D3B1406A 1802D516
	v_pk_mul_f32 v[108:109], v[22:23], v[108:109]              // 000000005318: D3B1406C 1802D916
	v_pk_mul_f32 v[110:111], v[22:23], v[110:111]              // 000000005320: D3B1406E 1802DD16
	v_pk_mul_f32 v[112:113], v[22:23], v[112:113]              // 000000005328: D3B14070 1802E116
	v_pk_mul_f32 v[114:115], v[22:23], v[114:115]              // 000000005330: D3B14072 1802E516
	v_pk_mul_f32 v[116:117], v[22:23], v[116:117]              // 000000005338: D3B14074 1802E916
	v_pk_mul_f32 v[118:119], v[22:23], v[118:119]              // 000000005340: D3B14076 1802ED16
	v_pk_mul_f32 v[120:121], v[22:23], v[120:121]              // 000000005348: D3B14078 1802F116
	v_pk_mul_f32 v[122:123], v[22:23], v[122:123]              // 000000005350: D3B1407A 1802F516
	v_pk_mul_f32 v[124:125], v[22:23], v[124:125]              // 000000005358: D3B1407C 1802F916
	v_pk_mul_f32 v[126:127], v[22:23], v[126:127]              // 000000005360: D3B1407E 1802FD16
	v_pk_mul_f32 v[128:129], v[22:23], v[128:129]              // 000000005368: D3B14080 18030116
	v_pk_mul_f32 v[130:131], v[22:23], v[130:131]              // 000000005370: D3B14082 18030516
	v_pk_mul_f32 v[132:133], v[22:23], v[132:133]              // 000000005378: D3B14084 18030916
	v_pk_mul_f32 v[134:135], v[22:23], v[134:135]              // 000000005380: D3B14086 18030D16
	v_pk_mul_f32 v[136:137], v[22:23], v[136:137]              // 000000005388: D3B14088 18031116
	v_pk_mul_f32 v[138:139], v[22:23], v[138:139]              // 000000005390: D3B1408A 18031516
	v_pk_mul_f32 v[140:141], v[22:23], v[140:141]              // 000000005398: D3B1408C 18031916
	v_pk_mul_f32 v[142:143], v[22:23], v[142:143]              // 0000000053A0: D3B1408E 18031D16
	v_pk_mul_f32 v[144:145], v[22:23], v[144:145]              // 0000000053A8: D3B14090 18032116
	v_pk_mul_f32 v[146:147], v[22:23], v[146:147]              // 0000000053B0: D3B14092 18032516
	v_pk_mul_f32 v[148:149], v[22:23], v[148:149]              // 0000000053B8: D3B14094 18032916
	v_pk_mul_f32 v[150:151], v[22:23], v[150:151]              // 0000000053C0: D3B14096 18032D16
	v_pk_mul_f32 v[152:153], v[22:23], v[152:153]              // 0000000053C8: D3B14098 18033116
	v_pk_mul_f32 v[154:155], v[22:23], v[154:155]              // 0000000053D0: D3B1409A 18033516
	v_accvgpr_read_b32 v20, a144                               // 0000000053D8: D3D84014 18000190
	v_accvgpr_read_b32 v21, a145                               // 0000000053E0: D3D84015 18000191
	v_pk_mul_f32 v[20:21], v[22:23], v[20:21]                  // 0000000053E8: D3B14014 18022916
	v_accvgpr_write_b32 a144, v20                              // 0000000053F0: D3D94090 18000114
	v_accvgpr_write_b32 a145, v21                              // 0000000053F8: D3D94091 18000115
	v_accvgpr_read_b32 v20, a146                               // 000000005400: D3D84014 18000192
	v_accvgpr_read_b32 v21, a147                               // 000000005408: D3D84015 18000193
	v_pk_mul_f32 v[20:21], v[22:23], v[20:21]                  // 000000005410: D3B14014 18022916
	v_accvgpr_write_b32 a146, v20                              // 000000005418: D3D94092 18000114
	v_accvgpr_write_b32 a147, v21                              // 000000005420: D3D94093 18000115
	v_accvgpr_read_b32 v20, a148                               // 000000005428: D3D84014 18000194
	v_accvgpr_read_b32 v21, a149                               // 000000005430: D3D84015 18000195
	v_pk_mul_f32 v[20:21], v[22:23], v[20:21]                  // 000000005438: D3B14014 18022916
	v_accvgpr_write_b32 a148, v20                              // 000000005440: D3D94094 18000114
	v_accvgpr_write_b32 a149, v21                              // 000000005448: D3D94095 18000115
	v_accvgpr_read_b32 v20, a150                               // 000000005450: D3D84014 18000196
	v_accvgpr_read_b32 v21, a151                               // 000000005458: D3D84015 18000197
	v_pk_mul_f32 v[20:21], v[22:23], v[20:21]                  // 000000005460: D3B14014 18022916
	v_accvgpr_write_b32 a150, v20                              // 000000005468: D3D94096 18000114
	v_accvgpr_write_b32 a151, v21                              // 000000005470: D3D94097 18000115
	v_accvgpr_read_b32 v20, a152                               // 000000005478: D3D84014 18000198
	v_accvgpr_read_b32 v21, a153                               // 000000005480: D3D84015 18000199
	v_pk_mul_f32 v[20:21], v[22:23], v[20:21]                  // 000000005488: D3B14014 18022916
	v_accvgpr_write_b32 a152, v20                              // 000000005490: D3D94098 18000114
	v_accvgpr_write_b32 a153, v21                              // 000000005498: D3D94099 18000115
	v_accvgpr_read_b32 v20, a154                               // 0000000054A0: D3D84014 1800019A
	v_accvgpr_read_b32 v21, a155                               // 0000000054A8: D3D84015 1800019B
	v_pk_mul_f32 v[20:21], v[22:23], v[20:21]                  // 0000000054B0: D3B14014 18022916
	v_accvgpr_write_b32 a154, v20                              // 0000000054B8: D3D9409A 18000114
	v_accvgpr_write_b32 a155, v21                              // 0000000054C0: D3D9409B 18000115
	v_accvgpr_read_b32 v20, a156                               // 0000000054C8: D3D84014 1800019C
	v_accvgpr_read_b32 v21, a157                               // 0000000054D0: D3D84015 1800019D
	v_pk_mul_f32 v[20:21], v[22:23], v[20:21]                  // 0000000054D8: D3B14014 18022916
	v_accvgpr_write_b32 a156, v20                              // 0000000054E0: D3D9409C 18000114
	v_accvgpr_write_b32 a157, v21                              // 0000000054E8: D3D9409D 18000115
	v_accvgpr_read_b32 v20, a158                               // 0000000054F0: D3D84014 1800019E
	v_accvgpr_read_b32 v21, a159                               // 0000000054F8: D3D84015 1800019F
	v_pk_mul_f32 v[20:21], v[22:23], v[20:21]                  // 000000005500: D3B14014 18022916
	v_accvgpr_write_b32 a158, v20                              // 000000005508: D3D9409E 18000114
	v_accvgpr_write_b32 a159, v21                              // 000000005510: D3D9409F 18000115
	v_accvgpr_read_b32 v20, a160                               // 000000005518: D3D84014 180001A0
	v_accvgpr_read_b32 v21, a161                               // 000000005520: D3D84015 180001A1
	v_pk_mul_f32 v[20:21], v[22:23], v[20:21]                  // 000000005528: D3B14014 18022916
	v_accvgpr_write_b32 a160, v20                              // 000000005530: D3D940A0 18000114
	v_accvgpr_write_b32 a161, v21                              // 000000005538: D3D940A1 18000115
	v_accvgpr_read_b32 v20, a162                               // 000000005540: D3D84014 180001A2
	v_accvgpr_read_b32 v21, a163                               // 000000005548: D3D84015 180001A3
	v_pk_mul_f32 v[20:21], v[22:23], v[20:21]                  // 000000005550: D3B14014 18022916
	v_accvgpr_write_b32 a162, v20                              // 000000005558: D3D940A2 18000114
	v_accvgpr_write_b32 a163, v21                              // 000000005560: D3D940A3 18000115
	v_accvgpr_read_b32 v20, a164                               // 000000005568: D3D84014 180001A4
	v_accvgpr_read_b32 v21, a165                               // 000000005570: D3D84015 180001A5
	v_pk_mul_f32 v[20:21], v[22:23], v[20:21]                  // 000000005578: D3B14014 18022916
	v_accvgpr_write_b32 a164, v20                              // 000000005580: D3D940A4 18000114
	v_accvgpr_write_b32 a165, v21                              // 000000005588: D3D940A5 18000115
	v_accvgpr_read_b32 v20, a166                               // 000000005590: D3D84014 180001A6
	v_accvgpr_read_b32 v21, a167                               // 000000005598: D3D84015 180001A7
	v_pk_mul_f32 v[20:21], v[22:23], v[20:21]                  // 0000000055A0: D3B14014 18022916
	v_accvgpr_write_b32 a166, v20                              // 0000000055A8: D3D940A6 18000114
	v_accvgpr_write_b32 a167, v21                              // 0000000055B0: D3D940A7 18000115
	v_accvgpr_read_b32 v20, a168                               // 0000000055B8: D3D84014 180001A8
	v_accvgpr_read_b32 v21, a169                               // 0000000055C0: D3D84015 180001A9
	v_pk_mul_f32 v[20:21], v[22:23], v[20:21]                  // 0000000055C8: D3B14014 18022916
	v_accvgpr_write_b32 a168, v20                              // 0000000055D0: D3D940A8 18000114
	v_accvgpr_write_b32 a169, v21                              // 0000000055D8: D3D940A9 18000115
	v_accvgpr_read_b32 v20, a170                               // 0000000055E0: D3D84014 180001AA
	v_accvgpr_read_b32 v21, a171                               // 0000000055E8: D3D84015 180001AB
	v_pk_mul_f32 v[20:21], v[22:23], v[20:21]                  // 0000000055F0: D3B14014 18022916
	v_accvgpr_write_b32 a170, v20                              // 0000000055F8: D3D940AA 18000114
	v_accvgpr_write_b32 a171, v21                              // 000000005600: D3D940AB 18000115
	s_waitcnt lgkmcnt(0)                                       // 000000005608: BF8CC07F
	v_mfma_f32_16x16x32_fp8_fp8 v[56:59], a[72:73], v[40:41], v[56:59]// 00000000560C: D3F30038 0CE25148
	ds_read_b128 a[104:107], v7 offset:45312                   // 000000005614: DBFEB100 68000007
	ds_read_b128 a[108:111], v7 offset:46336                   // 00000000561C: DBFEB500 6C000007
	v_mfma_f32_16x16x32_fp8_fp8 v[60:63], a[74:75], v[40:41], v[60:63]// 000000005624: D3F3003C 0CF2514A
	v_mfma_f32_16x16x32_fp8_fp8 v[64:67], a[76:77], v[40:41], v[64:67]// 00000000562C: D3F30040 0D02514C
	v_mfma_f32_16x16x32_fp8_fp8 v[68:71], a[78:79], v[40:41], v[68:71]// 000000005634: D3F30044 0D12514E
	v_mfma_f32_16x16x32_fp8_fp8 v[72:75], a[80:81], v[40:41], v[72:75]// 00000000563C: D3F30048 0D225150
	ds_read_b128 a[112:115], v7 offset:47360                   // 000000005644: DBFEB900 70000007
	ds_read_b128 a[116:119], v7 offset:48384                   // 00000000564C: DBFEBD00 74000007
	v_mfma_f32_16x16x32_fp8_fp8 v[76:79], a[82:83], v[40:41], v[76:79]// 000000005654: D3F3004C 0D325152
	v_mfma_f32_16x16x32_fp8_fp8 v[80:83], a[84:85], v[40:41], v[80:83]// 00000000565C: D3F30050 0D425154
	v_mfma_f32_16x16x32_fp8_fp8 v[84:87], a[86:87], v[40:41], v[84:87]// 000000005664: D3F30054 0D525156
	v_mfma_f32_16x16x32_fp8_fp8 v[88:91], a[88:89], v[40:41], v[88:91]// 00000000566C: D3F30058 0D625158
	ds_read_b128 a[120:123], v7 offset:49408                   // 000000005674: DBFEC100 78000007
	ds_read_b128 a[124:127], v7 offset:50432                   // 00000000567C: DBFEC500 7C000007
	v_mfma_f32_16x16x32_fp8_fp8 v[92:95], a[90:91], v[40:41], v[92:95]// 000000005684: D3F3005C 0D72515A
	v_mfma_f32_16x16x32_fp8_fp8 v[96:99], a[92:93], v[40:41], v[96:99]// 00000000568C: D3F30060 0D82515C
	v_mfma_f32_16x16x32_fp8_fp8 v[100:103], a[94:95], v[40:41], v[100:103]// 000000005694: D3F30064 0D92515E
	v_mfma_f32_16x16x32_fp8_fp8 v[104:107], a[96:97], v[40:41], v[104:107]// 00000000569C: D3F30068 0DA25160
	ds_read_b128 a[128:131], v7 offset:51456                   // 0000000056A4: DBFEC900 80000007
	ds_read_b128 a[132:135], v7 offset:52480                   // 0000000056AC: DBFECD00 84000007
	v_mfma_f32_16x16x32_fp8_fp8 v[108:111], a[98:99], v[40:41], v[108:111]// 0000000056B4: D3F3006C 0DB25162
	v_mfma_f32_16x16x32_fp8_fp8 v[112:115], a[100:101], v[40:41], v[112:115]// 0000000056BC: D3F30070 0DC25164
	v_mfma_f32_16x16x32_fp8_fp8 v[116:119], a[102:103], v[40:41], v[116:119]// 0000000056C4: D3F30074 0DD25166
	s_waitcnt lgkmcnt(4)                                       // 0000000056CC: BF8CC47F
	v_mfma_f32_16x16x32_fp8_fp8 v[120:123], a[104:105], v[40:41], v[120:123]// 0000000056D0: D3F30078 0DE25168
	v_max3_f32 v24, v48, v49, v48                              // 0000000056D8: D1D30018 04C26330
	v_max3_f32 v24, v50, v51, v24                              // 0000000056E0: D1D30018 04626732
	v_max3_f32 v24, v52, v53, v24                              // 0000000056E8: D1D30018 04626B34
	v_max3_f32 v24, v54, v55, v24                              // 0000000056F0: D1D30018 04626F36
	ds_write_b32 v3, v24 offset:54528                          // 0000000056F8: D81AD500 00001803
	v_mfma_f32_16x16x32_fp8_fp8 v[124:127], a[106:107], v[40:41], v[124:127]// 000000005700: D3F3007C 0DF2516A
	v_mfma_f32_16x16x32_fp8_fp8 v[128:131], a[108:109], v[40:41], v[128:131]// 000000005708: D3F30080 0E02516C
	v_mfma_f32_16x16x32_fp8_fp8 v[132:135], a[110:111], v[40:41], v[132:135]// 000000005710: D3F30084 0E12516E
	v_mfma_f32_16x16x32_fp8_fp8 v[136:139], a[112:113], v[40:41], v[136:139]// 000000005718: D3F30088 0E225170
	v_mfma_f32_16x16x32_fp8_fp8 v[140:143], a[114:115], v[40:41], v[140:143]// 000000005720: D3F3008C 0E325172
	v_mfma_f32_16x16x32_fp8_fp8 v[144:147], a[116:117], v[40:41], v[144:147]// 000000005728: D3F30090 0E425174
	v_mfma_f32_16x16x32_fp8_fp8 v[148:151], a[118:119], v[40:41], v[148:151]// 000000005730: D3F30094 0E525176
	s_waitcnt lgkmcnt(0)                                       // 000000005738: BF8CC07F
	v_mfma_f32_16x16x32_fp8_fp8 v[152:155], a[120:121], v[40:41], v[152:155]// 00000000573C: D3F30098 0E625178
	s_waitcnt lgkmcnt(0)                                       // 000000005744: BF8CC07F
	ds_read_b32 v20, v2 offset:54528                           // 000000005748: D86CD500 14000002
	ds_read_b32 v21, v2 offset:54592                           // 000000005750: D86CD540 15000002
	v_mfma_f32_16x16x32_fp8_fp8 a[144:147], a[122:123], v[40:41], a[144:147]// 000000005758: D3F38090 0E42517A
	ds_read_b32 v22, v2 offset:54656                           // 000000005760: D86CD580 16000002
	ds_read_b32 v23, v2 offset:54720                           // 000000005768: D86CD5C0 17000002
	v_mfma_f32_16x16x32_fp8_fp8 a[148:151], a[124:125], v[40:41], a[148:151]// 000000005770: D3F38094 0E52517C
	v_mfma_f32_16x16x32_fp8_fp8 a[152:155], a[126:127], v[40:41], a[152:155]// 000000005778: D3F38098 0E62517E
	v_mfma_f32_16x16x32_fp8_fp8 a[156:159], a[128:129], v[40:41], a[156:159]// 000000005780: D3F3809C 0E725180
	v_mfma_f32_16x16x32_fp8_fp8 a[160:163], a[130:131], v[40:41], a[160:163]// 000000005788: D3F380A0 0E825182
	v_mfma_f32_16x16x32_fp8_fp8 a[164:167], a[132:133], v[40:41], a[164:167]// 000000005790: D3F380A4 0E925184
	v_mfma_f32_16x16x32_fp8_fp8 a[168:171], a[134:135], v[40:41], a[168:171]// 000000005798: D3F380A8 0EA25186
	s_waitcnt lgkmcnt(0)                                       // 0000000057A0: BF8CC07F
	v_max3_f32 v24, v20, v21, v24                              // 0000000057A4: D1D30018 04622B14
	v_max3_f32 v24, v22, v23, v24                              // 0000000057AC: D1D30018 04622F16
	v_mov_b32_e32 v25, 0xff7fffff                              // 0000000057B4: 7E3202FF FF7FFFFF
	v_cmp_eq_u32_e64 s[38:39], v25, v13                        // 0000000057BC: D0CA0026 00021B19
	v_max_f32_e32 v20, v24, v13                                // 0000000057C4: 16281B18
	v_sub_f32_e32 v17, v13, v20                                // 0000000057C8: 0422290D
	v_cndmask_b32_e64 v17, v17, 0, s[38:39]                    // 0000000057CC: D1000011 00990111
	v_mov_b32_e32 v13, v20                                     // 0000000057D4: 7E1A0314
	v_mul_f32_e32 v21, s5, v20                                 // 0000000057D8: 0A2A2805
	v_mul_f32_e32 v17, s5, v17                                 // 0000000057DC: 0A222205
	v_exp_f32_e32 v17, v17                                     // 0000000057E0: 7E224111
	v_fma_f32 v48, v48, s5, -v21                               // 0000000057E4: D1CB0030 84540B30
	v_fma_f32 v49, v49, s5, -v21                               // 0000000057EC: D1CB0031 84540B31
	v_fma_f32 v50, v50, s5, -v21                               // 0000000057F4: D1CB0032 84540B32
	v_fma_f32 v51, v51, s5, -v21                               // 0000000057FC: D1CB0033 84540B33
	v_fma_f32 v52, v52, s5, -v21                               // 000000005804: D1CB0034 84540B34
	v_fma_f32 v53, v53, s5, -v21                               // 00000000580C: D1CB0035 84540B35
	v_fma_f32 v54, v54, s5, -v21                               // 000000005814: D1CB0036 84540B36
	v_fma_f32 v55, v55, s5, -v21                               // 00000000581C: D1CB0037 84540B37
	v_exp_f32_e32 v48, v48                                     // 000000005824: 7E604130
	v_exp_f32_e32 v49, v49                                     // 000000005828: 7E624131
	v_exp_f32_e32 v50, v50                                     // 00000000582C: 7E644132
	v_exp_f32_e32 v51, v51                                     // 000000005830: 7E664133
	v_exp_f32_e32 v52, v52                                     // 000000005834: 7E684134
	v_exp_f32_e32 v53, v53                                     // 000000005838: 7E6A4135
	v_exp_f32_e32 v54, v54                                     // 00000000583C: 7E6C4136
	v_exp_f32_e32 v55, v55                                     // 000000005840: 7E6E4137
	v_mul_f32_e32 v15, v17, v15                                // 000000005844: 0A1E1F11
	v_mov_b32_e32 v22, v48                                     // 000000005848: 7E2C0330
	v_add_f32_e32 v22, v49, v22                                // 00000000584C: 022C2D31
	v_add_f32_e32 v22, v50, v22                                // 000000005850: 022C2D32
	v_add_f32_e32 v22, v51, v22                                // 000000005854: 022C2D33
	v_add_f32_e32 v22, v52, v22                                // 000000005858: 022C2D34
	v_add_f32_e32 v22, v53, v22                                // 00000000585C: 022C2D35
	v_add_f32_e32 v22, v54, v22                                // 000000005860: 022C2D36
	v_add_f32_e32 v22, v55, v22                                // 000000005864: 022C2D37
	v_add_f32_e32 v15, v22, v15                                // 000000005868: 021E1F16
	v_cvt_pk_fp8_f32 v42, v48, v49                             // 00000000586C: D2A2002A 00026330
	v_cvt_pk_fp8_f32 v42, v50, v51 op_sel:[0,0,1]              // 000000005874: D2A2402A 00026732
	v_cvt_pk_fp8_f32 v43, v52, v53                             // 00000000587C: D2A2002B 00026B34
	v_cvt_pk_fp8_f32 v43, v54, v55 op_sel:[0,0,1]              // 000000005884: D2A2402B 00026F36
	s_nop 0                                                    // 00000000588C: BF800000
	v_mov_b32_e32 v22, v17                                     // 000000005890: 7E2C0311
	v_mov_b32_e32 v23, v17                                     // 000000005894: 7E2E0311
	v_pk_mul_f32 v[156:157], v[22:23], v[156:157]              // 000000005898: D3B1409C 18033916
	v_pk_mul_f32 v[158:159], v[22:23], v[158:159]              // 0000000058A0: D3B1409E 18033D16
	v_pk_mul_f32 v[160:161], v[22:23], v[160:161]              // 0000000058A8: D3B140A0 18034116
	v_pk_mul_f32 v[162:163], v[22:23], v[162:163]              // 0000000058B0: D3B140A2 18034516
	v_pk_mul_f32 v[164:165], v[22:23], v[164:165]              // 0000000058B8: D3B140A4 18034916
	v_pk_mul_f32 v[166:167], v[22:23], v[166:167]              // 0000000058C0: D3B140A6 18034D16
	v_pk_mul_f32 v[168:169], v[22:23], v[168:169]              // 0000000058C8: D3B140A8 18035116
	v_pk_mul_f32 v[170:171], v[22:23], v[170:171]              // 0000000058D0: D3B140AA 18035516
	v_pk_mul_f32 v[172:173], v[22:23], v[172:173]              // 0000000058D8: D3B140AC 18035916
	v_pk_mul_f32 v[174:175], v[22:23], v[174:175]              // 0000000058E0: D3B140AE 18035D16
	v_pk_mul_f32 v[176:177], v[22:23], v[176:177]              // 0000000058E8: D3B140B0 18036116
	v_pk_mul_f32 v[178:179], v[22:23], v[178:179]              // 0000000058F0: D3B140B2 18036516
	v_pk_mul_f32 v[180:181], v[22:23], v[180:181]              // 0000000058F8: D3B140B4 18036916
	v_pk_mul_f32 v[182:183], v[22:23], v[182:183]              // 000000005900: D3B140B6 18036D16
	v_pk_mul_f32 v[184:185], v[22:23], v[184:185]              // 000000005908: D3B140B8 18037116
	v_pk_mul_f32 v[186:187], v[22:23], v[186:187]              // 000000005910: D3B140BA 18037516
	v_pk_mul_f32 v[188:189], v[22:23], v[188:189]              // 000000005918: D3B140BC 18037916
	v_pk_mul_f32 v[190:191], v[22:23], v[190:191]              // 000000005920: D3B140BE 18037D16
	v_pk_mul_f32 v[192:193], v[22:23], v[192:193]              // 000000005928: D3B140C0 18038116
	v_pk_mul_f32 v[194:195], v[22:23], v[194:195]              // 000000005930: D3B140C2 18038516
	v_pk_mul_f32 v[196:197], v[22:23], v[196:197]              // 000000005938: D3B140C4 18038916
	v_pk_mul_f32 v[198:199], v[22:23], v[198:199]              // 000000005940: D3B140C6 18038D16
	v_pk_mul_f32 v[200:201], v[22:23], v[200:201]              // 000000005948: D3B140C8 18039116
	v_pk_mul_f32 v[202:203], v[22:23], v[202:203]              // 000000005950: D3B140CA 18039516
	v_pk_mul_f32 v[204:205], v[22:23], v[204:205]              // 000000005958: D3B140CC 18039916
	v_pk_mul_f32 v[206:207], v[22:23], v[206:207]              // 000000005960: D3B140CE 18039D16
	v_pk_mul_f32 v[208:209], v[22:23], v[208:209]              // 000000005968: D3B140D0 1803A116
	v_pk_mul_f32 v[210:211], v[22:23], v[210:211]              // 000000005970: D3B140D2 1803A516
	v_pk_mul_f32 v[212:213], v[22:23], v[212:213]              // 000000005978: D3B140D4 1803A916
	v_pk_mul_f32 v[214:215], v[22:23], v[214:215]              // 000000005980: D3B140D6 1803AD16
	v_pk_mul_f32 v[216:217], v[22:23], v[216:217]              // 000000005988: D3B140D8 1803B116
	v_pk_mul_f32 v[218:219], v[22:23], v[218:219]              // 000000005990: D3B140DA 1803B516
	v_pk_mul_f32 v[220:221], v[22:23], v[220:221]              // 000000005998: D3B140DC 1803B916
	v_pk_mul_f32 v[222:223], v[22:23], v[222:223]              // 0000000059A0: D3B140DE 1803BD16
	v_pk_mul_f32 v[224:225], v[22:23], v[224:225]              // 0000000059A8: D3B140E0 1803C116
	v_pk_mul_f32 v[226:227], v[22:23], v[226:227]              // 0000000059B0: D3B140E2 1803C516
	v_pk_mul_f32 v[228:229], v[22:23], v[228:229]              // 0000000059B8: D3B140E4 1803C916
	v_pk_mul_f32 v[230:231], v[22:23], v[230:231]              // 0000000059C0: D3B140E6 1803CD16
	v_pk_mul_f32 v[232:233], v[22:23], v[232:233]              // 0000000059C8: D3B140E8 1803D116
	v_pk_mul_f32 v[234:235], v[22:23], v[234:235]              // 0000000059D0: D3B140EA 1803D516
	v_pk_mul_f32 v[236:237], v[22:23], v[236:237]              // 0000000059D8: D3B140EC 1803D916
	v_pk_mul_f32 v[238:239], v[22:23], v[238:239]              // 0000000059E0: D3B140EE 1803DD16
	v_pk_mul_f32 v[240:241], v[22:23], v[240:241]              // 0000000059E8: D3B140F0 1803E116
	v_pk_mul_f32 v[242:243], v[22:23], v[242:243]              // 0000000059F0: D3B140F2 1803E516
	v_pk_mul_f32 v[244:245], v[22:23], v[244:245]              // 0000000059F8: D3B140F4 1803E916
	v_pk_mul_f32 v[246:247], v[22:23], v[246:247]              // 000000005A00: D3B140F6 1803ED16
	v_pk_mul_f32 v[248:249], v[22:23], v[248:249]              // 000000005A08: D3B140F8 1803F116
	v_pk_mul_f32 v[250:251], v[22:23], v[250:251]              // 000000005A10: D3B140FA 1803F516
	v_pk_mul_f32 v[252:253], v[22:23], v[252:253]              // 000000005A18: D3B140FC 1803F916
	v_pk_mul_f32 v[254:255], v[22:23], v[254:255]              // 000000005A20: D3B140FE 1803FD16
	v_accvgpr_read_b32 v20, a172                               // 000000005A28: D3D84014 180001AC
	v_accvgpr_read_b32 v21, a173                               // 000000005A30: D3D84015 180001AD
	v_pk_mul_f32 v[20:21], v[22:23], v[20:21]                  // 000000005A38: D3B14014 18022916
	v_accvgpr_write_b32 a172, v20                              // 000000005A40: D3D940AC 18000114
	v_accvgpr_write_b32 a173, v21                              // 000000005A48: D3D940AD 18000115
	v_accvgpr_read_b32 v20, a174                               // 000000005A50: D3D84014 180001AE
	v_accvgpr_read_b32 v21, a175                               // 000000005A58: D3D84015 180001AF
	v_pk_mul_f32 v[20:21], v[22:23], v[20:21]                  // 000000005A60: D3B14014 18022916
	v_accvgpr_write_b32 a174, v20                              // 000000005A68: D3D940AE 18000114
	v_accvgpr_write_b32 a175, v21                              // 000000005A70: D3D940AF 18000115
	v_accvgpr_read_b32 v20, a176                               // 000000005A78: D3D84014 180001B0
	v_accvgpr_read_b32 v21, a177                               // 000000005A80: D3D84015 180001B1
	v_pk_mul_f32 v[20:21], v[22:23], v[20:21]                  // 000000005A88: D3B14014 18022916
	v_accvgpr_write_b32 a176, v20                              // 000000005A90: D3D940B0 18000114
	v_accvgpr_write_b32 a177, v21                              // 000000005A98: D3D940B1 18000115
	v_accvgpr_read_b32 v20, a178                               // 000000005AA0: D3D84014 180001B2
	v_accvgpr_read_b32 v21, a179                               // 000000005AA8: D3D84015 180001B3
	v_pk_mul_f32 v[20:21], v[22:23], v[20:21]                  // 000000005AB0: D3B14014 18022916
	v_accvgpr_write_b32 a178, v20                              // 000000005AB8: D3D940B2 18000114
	v_accvgpr_write_b32 a179, v21                              // 000000005AC0: D3D940B3 18000115
	v_accvgpr_read_b32 v20, a180                               // 000000005AC8: D3D84014 180001B4
	v_accvgpr_read_b32 v21, a181                               // 000000005AD0: D3D84015 180001B5
	v_pk_mul_f32 v[20:21], v[22:23], v[20:21]                  // 000000005AD8: D3B14014 18022916
	v_accvgpr_write_b32 a180, v20                              // 000000005AE0: D3D940B4 18000114
	v_accvgpr_write_b32 a181, v21                              // 000000005AE8: D3D940B5 18000115
	v_accvgpr_read_b32 v20, a182                               // 000000005AF0: D3D84014 180001B6
	v_accvgpr_read_b32 v21, a183                               // 000000005AF8: D3D84015 180001B7
	v_pk_mul_f32 v[20:21], v[22:23], v[20:21]                  // 000000005B00: D3B14014 18022916
	v_accvgpr_write_b32 a182, v20                              // 000000005B08: D3D940B6 18000114
	v_accvgpr_write_b32 a183, v21                              // 000000005B10: D3D940B7 18000115
	v_accvgpr_read_b32 v20, a184                               // 000000005B18: D3D84014 180001B8
	v_accvgpr_read_b32 v21, a185                               // 000000005B20: D3D84015 180001B9
	v_pk_mul_f32 v[20:21], v[22:23], v[20:21]                  // 000000005B28: D3B14014 18022916
	v_accvgpr_write_b32 a184, v20                              // 000000005B30: D3D940B8 18000114
	v_accvgpr_write_b32 a185, v21                              // 000000005B38: D3D940B9 18000115
	v_accvgpr_read_b32 v20, a186                               // 000000005B40: D3D84014 180001BA
	v_accvgpr_read_b32 v21, a187                               // 000000005B48: D3D84015 180001BB
	v_pk_mul_f32 v[20:21], v[22:23], v[20:21]                  // 000000005B50: D3B14014 18022916
	v_accvgpr_write_b32 a186, v20                              // 000000005B58: D3D940BA 18000114
	v_accvgpr_write_b32 a187, v21                              // 000000005B60: D3D940BB 18000115
	v_accvgpr_read_b32 v20, a188                               // 000000005B68: D3D84014 180001BC
	v_accvgpr_read_b32 v21, a189                               // 000000005B70: D3D84015 180001BD
	v_pk_mul_f32 v[20:21], v[22:23], v[20:21]                  // 000000005B78: D3B14014 18022916
	v_accvgpr_write_b32 a188, v20                              // 000000005B80: D3D940BC 18000114
	v_accvgpr_write_b32 a189, v21                              // 000000005B88: D3D940BD 18000115
	v_accvgpr_read_b32 v20, a190                               // 000000005B90: D3D84014 180001BE
	v_accvgpr_read_b32 v21, a191                               // 000000005B98: D3D84015 180001BF
	v_pk_mul_f32 v[20:21], v[22:23], v[20:21]                  // 000000005BA0: D3B14014 18022916
	v_accvgpr_write_b32 a190, v20                              // 000000005BA8: D3D940BE 18000114
	v_accvgpr_write_b32 a191, v21                              // 000000005BB0: D3D940BF 18000115
	v_accvgpr_read_b32 v20, a192                               // 000000005BB8: D3D84014 180001C0
	v_accvgpr_read_b32 v21, a193                               // 000000005BC0: D3D84015 180001C1
	v_pk_mul_f32 v[20:21], v[22:23], v[20:21]                  // 000000005BC8: D3B14014 18022916
	v_accvgpr_write_b32 a192, v20                              // 000000005BD0: D3D940C0 18000114
	v_accvgpr_write_b32 a193, v21                              // 000000005BD8: D3D940C1 18000115
	v_accvgpr_read_b32 v20, a194                               // 000000005BE0: D3D84014 180001C2
	v_accvgpr_read_b32 v21, a195                               // 000000005BE8: D3D84015 180001C3
	v_pk_mul_f32 v[20:21], v[22:23], v[20:21]                  // 000000005BF0: D3B14014 18022916
	v_accvgpr_write_b32 a194, v20                              // 000000005BF8: D3D940C2 18000114
	v_accvgpr_write_b32 a195, v21                              // 000000005C00: D3D940C3 18000115
	v_accvgpr_read_b32 v20, a196                               // 000000005C08: D3D84014 180001C4
	v_accvgpr_read_b32 v21, a197                               // 000000005C10: D3D84015 180001C5
	v_pk_mul_f32 v[20:21], v[22:23], v[20:21]                  // 000000005C18: D3B14014 18022916
	v_accvgpr_write_b32 a196, v20                              // 000000005C20: D3D940C4 18000114
	v_accvgpr_write_b32 a197, v21                              // 000000005C28: D3D940C5 18000115
	v_accvgpr_read_b32 v20, a198                               // 000000005C30: D3D84014 180001C6
	v_accvgpr_read_b32 v21, a199                               // 000000005C38: D3D84015 180001C7
	v_pk_mul_f32 v[20:21], v[22:23], v[20:21]                  // 000000005C40: D3B14014 18022916
	v_accvgpr_write_b32 a198, v20                              // 000000005C48: D3D940C6 18000114
	v_accvgpr_write_b32 a199, v21                              // 000000005C50: D3D940C7 18000115
	s_waitcnt vmcnt(18) lgkmcnt(0)                             // 000000005C58: BF8C4072
	s_barrier                                                  // 000000005C5C: BF8A0000
	v_mfma_f32_16x16x32_fp8_fp8 v[156:159], a[72:73], v[42:43], v[156:159]// 000000005C60: D3F3009C 0E725548
	v_mfma_f32_16x16x32_fp8_fp8 v[160:163], a[74:75], v[42:43], v[160:163]// 000000005C68: D3F300A0 0E82554A
	ds_read_b32 v20, v5                                        // 000000005C70: D86C0000 14000005
	ds_read_b32 v21, v5 offset:4640                            // 000000005C78: D86C1220 15000005
	ds_read_b32 v22, v5 offset:9280                            // 000000005C80: D86C2440 16000005
	ds_read_b32 v23, v5 offset:13920                           // 000000005C88: D86C3660 17000005
	v_mfma_f32_16x16x32_fp8_fp8 v[164:167], a[76:77], v[42:43], v[164:167]// 000000005C90: D3F300A4 0E92554C
	v_mfma_f32_16x16x32_fp8_fp8 v[168:171], a[78:79], v[42:43], v[168:171]// 000000005C98: D3F300A8 0EA2554E
	ds_read_b32 v24, v5 offset:128                             // 000000005CA0: D86C0080 18000005
	ds_read_b32 v25, v5 offset:4768                            // 000000005CA8: D86C12A0 19000005
	ds_read_b32 v26, v5 offset:9408                            // 000000005CB0: D86C24C0 1A000005
	ds_read_b32 v27, v5 offset:14048                           // 000000005CB8: D86C36E0 1B000005
	v_mfma_f32_16x16x32_fp8_fp8 v[172:175], a[80:81], v[42:43], v[172:175]// 000000005CC0: D3F300AC 0EB25550
	v_mfma_f32_16x16x32_fp8_fp8 v[176:179], a[82:83], v[42:43], v[176:179]// 000000005CC8: D3F300B0 0EC25552
	ds_read_b128 a[72:75], v4                                  // 000000005CD0: DBFE0000 48000004
	ds_read_b128 a[76:79], v4 offset:256                       // 000000005CD8: DBFE0100 4C000004
	v_mfma_f32_16x16x32_fp8_fp8 v[180:183], a[84:85], v[42:43], v[180:183]// 000000005CE0: D3F300B4 0ED25554
	v_mfma_f32_16x16x32_fp8_fp8 v[184:187], a[86:87], v[42:43], v[184:187]// 000000005CE8: D3F300B8 0EE25556
	s_waitcnt lgkmcnt(2)                                       // 000000005CF0: BF8CC27F
	v_perm_b32 v32, v22, v20, s52                              // 000000005CF4: D1ED0020 00D22916
	v_perm_b32 v33, v22, v20, s53                              // 000000005CFC: D1ED0021 00D62916
	v_perm_b32 v34, v23, v21, s52                              // 000000005D04: D1ED0022 00D22B17
	v_perm_b32 v35, v23, v21, s53                              // 000000005D0C: D1ED0023 00D62B17
	v_perm_b32 v28, v34, v32, s54                              // 000000005D14: D1ED001C 00DA4122
	v_perm_b32 v36, v34, v32, s55                              // 000000005D1C: D1ED0024 00DE4122
	v_perm_b32 v30, v35, v33, s54                              // 000000005D24: D1ED001E 00DA4323
	v_perm_b32 v38, v35, v33, s55                              // 000000005D2C: D1ED0026 00DE4323
	v_mfma_f32_16x16x32_fp8_fp8 v[188:191], a[88:89], v[42:43], v[188:191]// 000000005D34: D3F300BC 0EF25558
	v_mfma_f32_16x16x32_fp8_fp8 v[192:195], a[90:91], v[42:43], v[192:195]// 000000005D3C: D3F300C0 0F02555A
	v_perm_b32 v32, v26, v24, s52                              // 000000005D44: D1ED0020 00D2311A
	v_perm_b32 v33, v26, v24, s53                              // 000000005D4C: D1ED0021 00D6311A
	v_perm_b32 v34, v27, v25, s52                              // 000000005D54: D1ED0022 00D2331B
	v_perm_b32 v35, v27, v25, s53                              // 000000005D5C: D1ED0023 00D6331B
	v_perm_b32 v29, v34, v32, s54                              // 000000005D64: D1ED001D 00DA4122
	v_perm_b32 v37, v34, v32, s55                              // 000000005D6C: D1ED0025 00DE4122
	v_perm_b32 v31, v35, v33, s54                              // 000000005D74: D1ED001F 00DA4323
	v_perm_b32 v39, v35, v33, s55                              // 000000005D7C: D1ED0027 00DE4323
	v_mfma_f32_16x16x32_fp8_fp8 v[196:199], a[92:93], v[42:43], v[196:199]// 000000005D84: D3F300C4 0F12555C
	v_mfma_f32_16x16x32_fp8_fp8 v[200:203], a[94:95], v[42:43], v[200:203]// 000000005D8C: D3F300C8 0F22555E
	ds_write_b128 v6, v[28:31] offset:37120                    // 000000005D94: D9BE9100 00001C06
	v_mfma_f32_16x16x32_fp8_fp8 v[204:207], a[96:97], v[42:43], v[204:207]// 000000005D9C: D3F300CC 0F325560
	v_mfma_f32_16x16x32_fp8_fp8 v[208:211], a[98:99], v[42:43], v[208:211]// 000000005DA4: D3F300D0 0F425562
	ds_write_b128 v6, v[36:39] offset:38144                    // 000000005DAC: D9BE9500 00002406
	v_mfma_f32_16x16x32_fp8_fp8 v[212:215], a[100:101], v[42:43], v[212:215]// 000000005DB4: D3F300D4 0F525564
	v_mfma_f32_16x16x32_fp8_fp8 v[216:219], a[102:103], v[42:43], v[216:219]// 000000005DBC: D3F300D8 0F625566
	v_mfma_f32_16x16x32_fp8_fp8 v[220:223], a[104:105], v[42:43], v[220:223]// 000000005DC4: D3F300DC 0F725568
	v_mfma_f32_16x16x32_fp8_fp8 v[224:227], a[106:107], v[42:43], v[224:227]// 000000005DCC: D3F300E0 0F82556A
	ds_read_b32 v20, v5 offset:1024                            // 000000005DD4: D86C0400 14000005
	ds_read_b32 v21, v5 offset:5664                            // 000000005DDC: D86C1620 15000005
	ds_read_b32 v22, v5 offset:10304                           // 000000005DE4: D86C2840 16000005
	ds_read_b32 v23, v5 offset:14944                           // 000000005DEC: D86C3A60 17000005
	v_mfma_f32_16x16x32_fp8_fp8 v[228:231], a[108:109], v[42:43], v[228:231]// 000000005DF4: D3F300E4 0F92556C
	v_mfma_f32_16x16x32_fp8_fp8 v[232:235], a[110:111], v[42:43], v[232:235]// 000000005DFC: D3F300E8 0FA2556E
	ds_read_b32 v24, v5 offset:1152                            // 000000005E04: D86C0480 18000005
	ds_read_b32 v25, v5 offset:5792                            // 000000005E0C: D86C16A0 19000005
	ds_read_b32 v26, v5 offset:10432                           // 000000005E14: D86C28C0 1A000005
	ds_read_b32 v27, v5 offset:15072                           // 000000005E1C: D86C3AE0 1B000005
	v_mfma_f32_16x16x32_fp8_fp8 v[236:239], a[112:113], v[42:43], v[236:239]// 000000005E24: D3F300EC 0FB25570
	v_mfma_f32_16x16x32_fp8_fp8 v[240:243], a[114:115], v[42:43], v[240:243]// 000000005E2C: D3F300F0 0FC25572
	ds_read_b128 a[80:83], v4 offset:512                       // 000000005E34: DBFE0200 50000004
	ds_read_b128 a[84:87], v4 offset:768                       // 000000005E3C: DBFE0300 54000004
	v_mfma_f32_16x16x32_fp8_fp8 v[244:247], a[116:117], v[42:43], v[244:247]// 000000005E44: D3F300F4 0FD25574
	v_mfma_f32_16x16x32_fp8_fp8 v[248:251], a[118:119], v[42:43], v[248:251]// 000000005E4C: D3F300F8 0FE25576
	v_mfma_f32_16x16x32_fp8_fp8 v[252:255], a[120:121], v[42:43], v[252:255]// 000000005E54: D3F300FC 0FF25578
	v_mfma_f32_16x16x32_fp8_fp8 a[172:175], a[122:123], v[42:43], a[172:175]// 000000005E5C: D3F380AC 0EB2557A
	ds_read_b128 a[88:91], v4 offset:1024                      // 000000005E64: DBFE0400 58000004
	ds_read_b128 a[92:95], v4 offset:1280                      // 000000005E6C: DBFE0500 5C000004
	v_mfma_f32_16x16x32_fp8_fp8 a[176:179], a[124:125], v[42:43], a[176:179]// 000000005E74: D3F380B0 0EC2557C
	v_mfma_f32_16x16x32_fp8_fp8 a[180:183], a[126:127], v[42:43], a[180:183]// 000000005E7C: D3F380B4 0ED2557E
	v_mfma_f32_16x16x32_fp8_fp8 a[184:187], a[128:129], v[42:43], a[184:187]// 000000005E84: D3F380B8 0EE25580
	v_mfma_f32_16x16x32_fp8_fp8 a[188:191], a[130:131], v[42:43], a[188:191]// 000000005E8C: D3F380BC 0EF25582
	ds_read_b128 a[96:99], v4 offset:1536                      // 000000005E94: DBFE0600 60000004
	ds_read_b128 a[100:103], v4 offset:1792                    // 000000005E9C: DBFE0700 64000004
	v_mfma_f32_16x16x32_fp8_fp8 a[192:195], a[132:133], v[42:43], a[192:195]// 000000005EA4: D3F380C0 0F025584
	v_mfma_f32_16x16x32_fp8_fp8 a[196:199], a[134:135], v[42:43], a[196:199]// 000000005EAC: D3F380C4 0F125586
	s_nop 0                                                    // 000000005EB4: BF800000
	s_addk_i32 s70, 0x1                                        // 000000005EB8: B7460001
	s_cmp_lt_i32 s70, s71                                      // 000000005EBC: BF044746
	s_cbranch_scc0 label_0EF2                                  // 000000005EC0: BF840001
	s_branch label_05B1                                        // 000000005EC4: BF82F6BF

0000000000005ec8 <label_0EF2>:
	s_nop 0                                                    // 000000005EC8: BF800000
	s_nop 0                                                    // 000000005ECC: BF800000
	s_branch label_1836                                        // 000000005ED0: BF820941

0000000000005ed4 <label_0EF5>:
	s_waitcnt lgkmcnt(4)                                       // 000000005ED4: BF8CC47F
	v_mfma_f32_16x16x32_fp8_fp8 v[40:43], a[72:73], a[0:1], 0  // 000000005ED8: D3F30028 1A020148
	buffer_load_dword v10, v8, s[24:27], 0 offen               // 000000005EE0: E0501000 80060A08
	v_mfma_f32_16x16x32_fp8_fp8 v[40:43], a[74:75], a[2:3], v[40:43]// 000000005EE8: D3F30028 1CA2054A
	ds_read_b128 a[104:107], v4 offset:2048                    // 000000005EF0: DBFE0800 68000004
	ds_read_b128 a[108:111], v4 offset:128                     // 000000005EF8: DBFE0080 6C000004
	v_mfma_f32_16x16x32_fp8_fp8 v[40:43], a[76:77], a[4:5], v[40:43]// 000000005F00: D3F30028 1CA2094C
	v_mfma_f32_16x16x32_fp8_fp8 v[40:43], a[78:79], a[6:7], v[40:43]// 000000005F08: D3F30028 1CA20D4E
	v_mfma_f32_16x16x32_fp8_fp8 v[40:43], a[80:81], a[8:9], v[40:43]// 000000005F10: D3F30028 1CA21150
	v_mfma_f32_16x16x32_fp8_fp8 v[40:43], a[82:83], a[10:11], v[40:43]// 000000005F18: D3F30028 1CA21552
	ds_read_b128 a[112:115], v4 offset:384                     // 000000005F20: DBFE0180 70000004
	ds_read_b128 a[116:119], v4 offset:640                     // 000000005F28: DBFE0280 74000004
	v_mfma_f32_16x16x32_fp8_fp8 v[40:43], a[84:85], a[12:13], v[40:43]// 000000005F30: D3F30028 1CA21954
	v_mfma_f32_16x16x32_fp8_fp8 v[40:43], a[86:87], a[14:15], v[40:43]// 000000005F38: D3F30028 1CA21D56
	s_waitcnt lgkmcnt(4)                                       // 000000005F40: BF8CC47F
	v_mfma_f32_16x16x32_fp8_fp8 v[40:43], a[88:89], a[16:17], v[40:43]// 000000005F44: D3F30028 1CA22158
	v_mfma_f32_16x16x32_fp8_fp8 v[40:43], a[90:91], a[18:19], v[40:43]// 000000005F4C: D3F30028 1CA2255A
	ds_read_b128 a[120:123], v4 offset:896                     // 000000005F54: DBFE0380 78000004
	ds_read_b128 a[124:127], v4 offset:1152                    // 000000005F5C: DBFE0480 7C000004
	v_mfma_f32_16x16x32_fp8_fp8 v[40:43], a[92:93], a[20:21], v[40:43]// 000000005F64: D3F30028 1CA2295C
	v_mfma_f32_16x16x32_fp8_fp8 v[40:43], a[94:95], a[22:23], v[40:43]// 000000005F6C: D3F30028 1CA22D5E
	v_mfma_f32_16x16x32_fp8_fp8 v[40:43], a[96:97], a[24:25], v[40:43]// 000000005F74: D3F30028 1CA23160
	v_mfma_f32_16x16x32_fp8_fp8 v[40:43], a[98:99], a[26:27], v[40:43]// 000000005F7C: D3F30028 1CA23562
	ds_read_b128 a[128:131], v4 offset:1408                    // 000000005F84: DBFE0580 80000004
	ds_read_b128 a[132:135], v4 offset:1664                    // 000000005F8C: DBFE0680 84000004
	v_mfma_f32_16x16x32_fp8_fp8 v[40:43], a[100:101], a[28:29], v[40:43]// 000000005F94: D3F30028 1CA23964
	v_mfma_f32_16x16x32_fp8_fp8 v[40:43], a[102:103], a[30:31], v[40:43]// 000000005F9C: D3F30028 1CA23D66
	s_waitcnt lgkmcnt(4)                                       // 000000005FA4: BF8CC47F
	s_barrier                                                  // 000000005FA8: BF8A0000
	v_mfma_f32_16x16x32_fp8_fp8 v[40:43], a[104:105], a[32:33], v[40:43]// 000000005FAC: D3F30028 1CA24168
	v_mfma_f32_16x16x32_fp8_fp8 v[40:43], a[106:107], a[34:35], v[40:43]// 000000005FB4: D3F30028 1CA2456A
	ds_read_b128 a[136:139], v4 offset:1920                    // 000000005FBC: DBFE0780 88000004
	ds_read_b128 a[140:143], v4 offset:2176                    // 000000005FC4: DBFE0880 8C000004
	v_mfma_f32_16x16x32_fp8_fp8 v[44:47], a[108:109], a[0:1], 0// 000000005FCC: D3F3002C 1A02016C
	buffer_load_dword v18, s[20:23], 0 offen lds               // 000000005FD4: E0511000 80050012
	s_add_u32 m0, 0, s35                                       // 000000005FDC: 807C2380
	v_mfma_f32_16x16x32_fp8_fp8 v[44:47], a[110:111], a[2:3], v[44:47]// 000000005FE0: D3F3002C 1CB2056E
	v_perm_b32 v32, v22, v20, s52                              // 000000005FE8: D1ED0020 00D22916
	v_perm_b32 v33, v22, v20, s53                              // 000000005FF0: D1ED0021 00D62916
	v_perm_b32 v34, v23, v21, s52                              // 000000005FF8: D1ED0022 00D22B17
	v_perm_b32 v35, v23, v21, s53                              // 000000006000: D1ED0023 00D62B17
	v_perm_b32 v28, v34, v32, s54                              // 000000006008: D1ED001C 00DA4122
	v_perm_b32 v36, v34, v32, s55                              // 000000006010: D1ED0024 00DE4122
	v_perm_b32 v30, v35, v33, s54                              // 000000006018: D1ED001E 00DA4323
	v_perm_b32 v38, v35, v33, s55                              // 000000006020: D1ED0026 00DE4323
	v_mfma_f32_16x16x32_fp8_fp8 v[44:47], a[112:113], a[4:5], v[44:47]// 000000006028: D3F3002C 1CB20970
	buffer_load_dword v19, s[20:23], 0 offen lds               // 000000006030: E0511000 80050013
	s_add_u32 m0, 0xc0, s34                                    // 000000006038: 807C22FF 000000C0
	v_mfma_f32_16x16x32_fp8_fp8 v[44:47], a[114:115], a[6:7], v[44:47]// 000000006040: D3F3002C 1CB20D72
	v_perm_b32 v32, v26, v24, s52                              // 000000006048: D1ED0020 00D2311A
	v_perm_b32 v33, v26, v24, s53                              // 000000006050: D1ED0021 00D6311A
	v_perm_b32 v34, v27, v25, s52                              // 000000006058: D1ED0022 00D2331B
	v_perm_b32 v35, v27, v25, s53                              // 000000006060: D1ED0023 00D6331B
	v_perm_b32 v29, v34, v32, s54                              // 000000006068: D1ED001D 00DA4122
	v_perm_b32 v37, v34, v32, s55                              // 000000006070: D1ED0025 00DE4122
	v_perm_b32 v31, v35, v33, s54                              // 000000006078: D1ED001F 00DA4323
	v_perm_b32 v39, v35, v33, s55                              // 000000006080: D1ED0027 00DE4323
	v_mfma_f32_16x16x32_fp8_fp8 v[44:47], a[116:117], a[8:9], v[44:47]// 000000006088: D3F3002C 1CB21174
	buffer_load_dword v18, s[20:23], 0 offen offset:64 lds     // 000000006090: E0511040 80050012
	s_add_u32 m0, 0xc0, s35                                    // 000000006098: 807C23FF 000000C0
	v_mfma_f32_16x16x32_fp8_fp8 v[44:47], a[118:119], a[10:11], v[44:47]// 0000000060A0: D3F3002C 1CB21576
	ds_write_b128 v6, v[28:31] offset:45312                    // 0000000060A8: D9BEB100 00001C06
	s_waitcnt lgkmcnt(1)                                       // 0000000060B0: BF8CC17F
	v_mfma_f32_16x16x32_fp8_fp8 v[44:47], a[120:121], a[12:13], v[44:47]// 0000000060B4: D3F3002C 1CB21978
	buffer_load_dword v19, s[20:23], 0 offen offset:64 lds     // 0000000060BC: E0511040 80050013
	s_add_u32 m0, 0x180, s34                                   // 0000000060C4: 807C22FF 00000180
	v_mfma_f32_16x16x32_fp8_fp8 v[44:47], a[122:123], a[14:15], v[44:47]// 0000000060CC: D3F3002C 1CB21D7A
	ds_write_b128 v6, v[36:39] offset:46336                    // 0000000060D4: D9BEB500 00002406
	v_mfma_f32_16x16x32_fp8_fp8 v[44:47], a[124:125], a[16:17], v[44:47]// 0000000060DC: D3F3002C 1CB2217C
	buffer_load_dword v18, s[20:23], 0 offen offset:128 lds    // 0000000060E4: E0511080 80050012
	s_add_u32 m0, 0x180, s35                                   // 0000000060EC: 807C23FF 00000180
	v_mfma_f32_16x16x32_fp8_fp8 v[44:47], a[126:127], a[18:19], v[44:47]// 0000000060F4: D3F3002C 1CB2257E
	v_mfma_f32_16x16x32_fp8_fp8 v[44:47], a[128:129], a[20:21], v[44:47]// 0000000060FC: D3F3002C 1CB22980
	buffer_load_dword v19, s[20:23], 0 offen offset:128 lds    // 000000006104: E0511080 80050013
	s_add_u32 m0, 0x240, s34                                   // 00000000610C: 807C22FF 00000240
	v_mfma_f32_16x16x32_fp8_fp8 v[44:47], a[130:131], a[22:23], v[44:47]// 000000006114: D3F3002C 1CB22D82
	v_mfma_f32_16x16x32_fp8_fp8 v[44:47], a[132:133], a[24:25], v[44:47]// 00000000611C: D3F3002C 1CB23184
	buffer_load_dword v18, s[20:23], 0 offen offset:192 lds    // 000000006124: E05110C0 80050012
	s_add_u32 m0, 0x240, s35                                   // 00000000612C: 807C23FF 00000240
	v_mfma_f32_16x16x32_fp8_fp8 v[44:47], a[134:135], a[26:27], v[44:47]// 000000006134: D3F3002C 1CB23586
	v_mfma_f32_16x16x32_fp8_fp8 v[44:47], a[136:137], a[28:29], v[44:47]// 00000000613C: D3F3002C 1CB23988
	buffer_load_dword v19, s[20:23], 0 offen offset:192 lds    // 000000006144: E05110C0 80050013
	s_add_u32 m0, 0x300, s34                                   // 00000000614C: 807C22FF 00000300
	v_mfma_f32_16x16x32_fp8_fp8 v[44:47], a[138:139], a[30:31], v[44:47]// 000000006154: D3F3002C 1CB23D8A
	v_mfma_f32_16x16x32_fp8_fp8 v[44:47], a[140:141], a[32:33], v[44:47]// 00000000615C: D3F3002C 1CB2418C
	buffer_load_dword v18, s[20:23], 0 offen offset:256 lds    // 000000006164: E0511100 80050012
	s_add_u32 m0, 0x300, s35                                   // 00000000616C: 807C23FF 00000300
	v_mfma_f32_16x16x32_fp8_fp8 v[44:47], a[142:143], a[34:35], v[44:47]// 000000006174: D3F3002C 1CB2458E
	v_add_u32_e32 v8, s73, v8                                  // 00000000617C: 68101049
	s_waitcnt lgkmcnt(0)                                       // 000000006180: BF8CC07F
	s_barrier                                                  // 000000006184: BF8A0000
	v_mfma_f32_16x16x32_fp8_fp8 v[48:51], a[72:73], a[36:37], 0// 000000006188: D3F30030 1A024948
	v_mfma_f32_16x16x32_fp8_fp8 v[48:51], a[74:75], a[38:39], v[48:51]// 000000006190: D3F30030 1CC24D4A
	v_max3_f32 v24, v40, v41, v40                              // 000000006198: D1D30018 04A25328
	v_max3_f32 v24, v42, v43, v24                              // 0000000061A0: D1D30018 0462572A
	v_max3_f32 v24, v44, v45, v24                              // 0000000061A8: D1D30018 04625B2C
	v_max3_f32 v24, v46, v47, v24                              // 0000000061B0: D1D30018 04625F2E
	ds_write_b32 v3, v24 offset:53504                          // 0000000061B8: D81AD100 00001803
	v_mfma_f32_16x16x32_fp8_fp8 v[48:51], a[76:77], a[40:41], v[48:51]// 0000000061C0: D3F30030 1CC2514C
	buffer_load_dword v19, s[20:23], 0 offen offset:256 lds    // 0000000061C8: E0511100 80050013
	s_add_u32 m0, 0x3c0, s34                                   // 0000000061D0: 807C22FF 000003C0
	v_mfma_f32_16x16x32_fp8_fp8 v[48:51], a[78:79], a[42:43], v[48:51]// 0000000061D8: D3F30030 1CC2554E
	v_mfma_f32_16x16x32_fp8_fp8 v[48:51], a[80:81], a[44:45], v[48:51]// 0000000061E0: D3F30030 1CC25950
	buffer_load_dword v18, s[20:23], 0 offen offset:320 lds    // 0000000061E8: E0511140 80050012
	s_add_u32 m0, 0x3c0, s35                                   // 0000000061F0: 807C23FF 000003C0
	v_mfma_f32_16x16x32_fp8_fp8 v[48:51], a[82:83], a[46:47], v[48:51]// 0000000061F8: D3F30030 1CC25D52
	v_mfma_f32_16x16x32_fp8_fp8 v[48:51], a[84:85], a[48:49], v[48:51]// 000000006200: D3F30030 1CC26154
	s_waitcnt lgkmcnt(0)                                       // 000000006208: BF8CC07F
	ds_read_b32 v20, v2 offset:53504                           // 00000000620C: D86CD100 14000002
	ds_read_b32 v21, v2 offset:53568                           // 000000006214: D86CD140 15000002
	v_mfma_f32_16x16x32_fp8_fp8 v[48:51], a[86:87], a[50:51], v[48:51]// 00000000621C: D3F30030 1CC26556
	ds_read_b32 v22, v2 offset:53632                           // 000000006224: D86CD180 16000002
	ds_read_b32 v23, v2 offset:53696                           // 00000000622C: D86CD1C0 17000002
	v_mfma_f32_16x16x32_fp8_fp8 v[48:51], a[88:89], a[52:53], v[48:51]// 000000006234: D3F30030 1CC26958
	buffer_load_dword v19, s[20:23], 0 offen offset:320 lds    // 00000000623C: E0511140 80050013
	s_add_u32 m0, 0x480, s34                                   // 000000006244: 807C22FF 00000480
	v_mfma_f32_16x16x32_fp8_fp8 v[48:51], a[90:91], a[54:55], v[48:51]// 00000000624C: D3F30030 1CC26D5A
	v_mfma_f32_16x16x32_fp8_fp8 v[48:51], a[92:93], a[56:57], v[48:51]// 000000006254: D3F30030 1CC2715C
	buffer_load_dword v18, s[20:23], 0 offen offset:384 lds    // 00000000625C: E0511180 80050012
	s_add_u32 m0, 0x480, s35                                   // 000000006264: 807C23FF 00000480
	v_mfma_f32_16x16x32_fp8_fp8 v[48:51], a[94:95], a[58:59], v[48:51]// 00000000626C: D3F30030 1CC2755E
	v_mfma_f32_16x16x32_fp8_fp8 v[48:51], a[96:97], a[60:61], v[48:51]// 000000006274: D3F30030 1CC27960
	buffer_load_dword v19, s[20:23], 0 offen offset:384 lds    // 00000000627C: E0511180 80050013
	s_add_u32 m0, 0x540, s34                                   // 000000006284: 807C22FF 00000540
	v_mfma_f32_16x16x32_fp8_fp8 v[48:51], a[98:99], a[62:63], v[48:51]// 00000000628C: D3F30030 1CC27D62
	v_mfma_f32_16x16x32_fp8_fp8 v[48:51], a[100:101], a[64:65], v[48:51]// 000000006294: D3F30030 1CC28164
	s_waitcnt lgkmcnt(0)                                       // 00000000629C: BF8CC07F
	v_max3_f32 v24, v20, v21, v24                              // 0000000062A0: D1D30018 04622B14
	v_max3_f32 v24, v22, v23, v24                              // 0000000062A8: D1D30018 04622F16
	v_mfma_f32_16x16x32_fp8_fp8 v[48:51], a[102:103], a[66:67], v[48:51]// 0000000062B0: D3F30030 1CC28566
	v_mfma_f32_16x16x32_fp8_fp8 v[48:51], a[104:105], a[68:69], v[48:51]// 0000000062B8: D3F30030 1CC28968
	buffer_load_dword v18, s[20:23], 0 offen offset:448 lds    // 0000000062C0: E05111C0 80050012
	s_add_u32 m0, 0x540, s35                                   // 0000000062C8: 807C23FF 00000540
	v_mfma_f32_16x16x32_fp8_fp8 v[48:51], a[106:107], a[70:71], v[48:51]// 0000000062D0: D3F30030 1CC28D6A
	v_mfma_f32_16x16x32_fp8_fp8 v[52:55], a[108:109], a[36:37], 0// 0000000062D8: D3F30034 1A02496C
	buffer_load_dword v19, s[20:23], 0 offen offset:448 lds    // 0000000062E0: E05111C0 80050013
	s_add_u32 m0, 0x600, s34                                   // 0000000062E8: 807C22FF 00000600
	v_mfma_f32_16x16x32_fp8_fp8 v[52:55], a[110:111], a[38:39], v[52:55]// 0000000062F0: D3F30034 1CD24D6E
	v_mfma_f32_16x16x32_fp8_fp8 v[52:55], a[112:113], a[40:41], v[52:55]// 0000000062F8: D3F30034 1CD25170
	buffer_load_dword v18, s[20:23], 0 offen offset:512 lds    // 000000006300: E0511200 80050012
	s_add_u32 m0, 0x600, s35                                   // 000000006308: 807C23FF 00000600
	v_mfma_f32_16x16x32_fp8_fp8 v[52:55], a[114:115], a[42:43], v[52:55]// 000000006310: D3F30034 1CD25572
	ds_read_b128 a[72:75], v7 offset:37120                     // 000000006318: DBFE9100 48000007
	ds_read_b128 a[76:79], v7 offset:38144                     // 000000006320: DBFE9500 4C000007
	v_mfma_f32_16x16x32_fp8_fp8 v[52:55], a[116:117], a[44:45], v[52:55]// 000000006328: D3F30034 1CD25974
	v_mfma_f32_16x16x32_fp8_fp8 v[52:55], a[118:119], a[46:47], v[52:55]// 000000006330: D3F30034 1CD25D76
	v_mfma_f32_16x16x32_fp8_fp8 v[52:55], a[120:121], a[48:49], v[52:55]// 000000006338: D3F30034 1CD26178
	buffer_load_dword v19, s[20:23], 0 offen offset:512 lds    // 000000006340: E0511200 80050013
	s_add_u32 m0, 0x6c0, s34                                   // 000000006348: 807C22FF 000006C0
	v_mfma_f32_16x16x32_fp8_fp8 v[52:55], a[122:123], a[50:51], v[52:55]// 000000006350: D3F30034 1CD2657A
	ds_read_b128 a[80:83], v7 offset:39168                     // 000000006358: DBFE9900 50000007
	ds_read_b128 a[84:87], v7 offset:40192                     // 000000006360: DBFE9D00 54000007
	v_mfma_f32_16x16x32_fp8_fp8 v[52:55], a[124:125], a[52:53], v[52:55]// 000000006368: D3F30034 1CD2697C
	v_mfma_f32_16x16x32_fp8_fp8 v[52:55], a[126:127], a[54:55], v[52:55]// 000000006370: D3F30034 1CD26D7E
	v_mfma_f32_16x16x32_fp8_fp8 v[52:55], a[128:129], a[56:57], v[52:55]// 000000006378: D3F30034 1CD27180
	v_mfma_f32_16x16x32_fp8_fp8 v[52:55], a[130:131], a[58:59], v[52:55]// 000000006380: D3F30034 1CD27582
	ds_read_b128 a[88:91], v7 offset:41216                     // 000000006388: DBFEA100 58000007
	ds_read_b128 a[92:95], v7 offset:42240                     // 000000006390: DBFEA500 5C000007
	v_mfma_f32_16x16x32_fp8_fp8 v[52:55], a[132:133], a[60:61], v[52:55]// 000000006398: D3F30034 1CD27984
	v_mfma_f32_16x16x32_fp8_fp8 v[52:55], a[134:135], a[62:63], v[52:55]// 0000000063A0: D3F30034 1CD27D86
	v_mfma_f32_16x16x32_fp8_fp8 v[52:55], a[136:137], a[64:65], v[52:55]// 0000000063A8: D3F30034 1CD28188
	v_mfma_f32_16x16x32_fp8_fp8 v[52:55], a[138:139], a[66:67], v[52:55]// 0000000063B0: D3F30034 1CD2858A
	ds_read_b128 a[96:99], v7 offset:43264                     // 0000000063B8: DBFEA900 60000007
	ds_read_b128 a[100:103], v7 offset:44288                   // 0000000063C0: DBFEAD00 64000007
	v_mfma_f32_16x16x32_fp8_fp8 v[52:55], a[140:141], a[68:69], v[52:55]// 0000000063C8: D3F30034 1CD2898C
	v_mfma_f32_16x16x32_fp8_fp8 v[52:55], a[142:143], a[70:71], v[52:55]// 0000000063D0: D3F30034 1CD28D8E
	v_mov_b32_e32 v25, 0xff7fffff                              // 0000000063D8: 7E3202FF FF7FFFFF
	v_cmp_eq_u32_e64 s[38:39], v25, v12                        // 0000000063E0: D0CA0026 00021919
	v_max_f32_e32 v20, v24, v12                                // 0000000063E8: 16281918
	v_sub_f32_e32 v16, v12, v20                                // 0000000063EC: 0420290C
	v_cndmask_b32_e64 v16, v16, 0, s[38:39]                    // 0000000063F0: D1000010 00990110
	v_mov_b32_e32 v12, v20                                     // 0000000063F8: 7E180314
	v_mul_f32_e32 v21, s5, v20                                 // 0000000063FC: 0A2A2805
	v_mul_f32_e32 v16, s5, v16                                 // 000000006400: 0A202005
	v_exp_f32_e32 v16, v16                                     // 000000006404: 7E204110
	v_fma_f32 v40, v40, s5, -v21                               // 000000006408: D1CB0028 84540B28
	v_fma_f32 v41, v41, s5, -v21                               // 000000006410: D1CB0029 84540B29
	v_fma_f32 v42, v42, s5, -v21                               // 000000006418: D1CB002A 84540B2A
	v_fma_f32 v43, v43, s5, -v21                               // 000000006420: D1CB002B 84540B2B
	v_fma_f32 v44, v44, s5, -v21                               // 000000006428: D1CB002C 84540B2C
	v_fma_f32 v45, v45, s5, -v21                               // 000000006430: D1CB002D 84540B2D
	v_fma_f32 v46, v46, s5, -v21                               // 000000006438: D1CB002E 84540B2E
	v_fma_f32 v47, v47, s5, -v21                               // 000000006440: D1CB002F 84540B2F
	v_exp_f32_e32 v40, v40                                     // 000000006448: 7E504128
	v_exp_f32_e32 v41, v41                                     // 00000000644C: 7E524129
	v_exp_f32_e32 v42, v42                                     // 000000006450: 7E54412A
	v_exp_f32_e32 v43, v43                                     // 000000006454: 7E56412B
	v_exp_f32_e32 v44, v44                                     // 000000006458: 7E58412C
	v_exp_f32_e32 v45, v45                                     // 00000000645C: 7E5A412D
	v_exp_f32_e32 v46, v46                                     // 000000006460: 7E5C412E
	v_exp_f32_e32 v47, v47                                     // 000000006464: 7E5E412F
	v_mul_f32_e32 v14, v16, v14                                // 000000006468: 0A1C1D10
	v_mov_b32_e32 v22, v40                                     // 00000000646C: 7E2C0328
	v_add_f32_e32 v22, v41, v22                                // 000000006470: 022C2D29
	v_add_f32_e32 v22, v42, v22                                // 000000006474: 022C2D2A
	v_add_f32_e32 v22, v43, v22                                // 000000006478: 022C2D2B
	v_add_f32_e32 v22, v44, v22                                // 00000000647C: 022C2D2C
	v_add_f32_e32 v22, v45, v22                                // 000000006480: 022C2D2D
	v_add_f32_e32 v22, v46, v22                                // 000000006484: 022C2D2E
	v_add_f32_e32 v22, v47, v22                                // 000000006488: 022C2D2F
	v_add_f32_e32 v14, v22, v14                                // 00000000648C: 021C1D16
	v_cvt_pk_fp8_f32 v40, v40, v41                             // 000000006490: D2A20028 00025328
	v_cvt_pk_fp8_f32 v40, v42, v43 op_sel:[0,0,1]              // 000000006498: D2A24028 0002572A
	v_cvt_pk_fp8_f32 v41, v44, v45                             // 0000000064A0: D2A20029 00025B2C
	v_cvt_pk_fp8_f32 v41, v46, v47 op_sel:[0,0,1]              // 0000000064A8: D2A24029 00025F2E
	s_nop 0                                                    // 0000000064B0: BF800000
	v_mul_u32_u24_dpp v18, v11, v9 row_newbcast:0 row_mask:0xf bank_mask:0xf// 0000000064B4: 102412FA FF01500B
	v_mul_u32_u24_dpp v19, v11, v9 row_newbcast:8 row_mask:0xf bank_mask:0xf// 0000000064BC: 102612FA FF01580B
	v_add_u32_e32 v18, v18, v1                                 // 0000000064C4: 68240312
	v_add_u32_e32 v19, v19, v1                                 // 0000000064C8: 68260313
	s_mov_b32 m0, s36                                          // 0000000064CC: BEFC0024
	v_mov_b32_e32 v22, v16                                     // 0000000064D0: 7E2C0310
	v_mov_b32_e32 v23, v16                                     // 0000000064D4: 7E2E0310
	v_pk_mul_f32 v[56:57], v[22:23], v[56:57]                  // 0000000064D8: D3B14038 18027116
	v_pk_mul_f32 v[58:59], v[22:23], v[58:59]                  // 0000000064E0: D3B1403A 18027516
	v_pk_mul_f32 v[60:61], v[22:23], v[60:61]                  // 0000000064E8: D3B1403C 18027916
	v_pk_mul_f32 v[62:63], v[22:23], v[62:63]                  // 0000000064F0: D3B1403E 18027D16
	v_pk_mul_f32 v[64:65], v[22:23], v[64:65]                  // 0000000064F8: D3B14040 18028116
	v_pk_mul_f32 v[66:67], v[22:23], v[66:67]                  // 000000006500: D3B14042 18028516
	v_pk_mul_f32 v[68:69], v[22:23], v[68:69]                  // 000000006508: D3B14044 18028916
	v_pk_mul_f32 v[70:71], v[22:23], v[70:71]                  // 000000006510: D3B14046 18028D16
	v_pk_mul_f32 v[72:73], v[22:23], v[72:73]                  // 000000006518: D3B14048 18029116
	v_pk_mul_f32 v[74:75], v[22:23], v[74:75]                  // 000000006520: D3B1404A 18029516
	v_pk_mul_f32 v[76:77], v[22:23], v[76:77]                  // 000000006528: D3B1404C 18029916
	v_pk_mul_f32 v[78:79], v[22:23], v[78:79]                  // 000000006530: D3B1404E 18029D16
	v_pk_mul_f32 v[80:81], v[22:23], v[80:81]                  // 000000006538: D3B14050 1802A116
	v_pk_mul_f32 v[82:83], v[22:23], v[82:83]                  // 000000006540: D3B14052 1802A516
	v_pk_mul_f32 v[84:85], v[22:23], v[84:85]                  // 000000006548: D3B14054 1802A916
	v_pk_mul_f32 v[86:87], v[22:23], v[86:87]                  // 000000006550: D3B14056 1802AD16
	v_pk_mul_f32 v[88:89], v[22:23], v[88:89]                  // 000000006558: D3B14058 1802B116
	v_pk_mul_f32 v[90:91], v[22:23], v[90:91]                  // 000000006560: D3B1405A 1802B516
	v_pk_mul_f32 v[92:93], v[22:23], v[92:93]                  // 000000006568: D3B1405C 1802B916
	v_pk_mul_f32 v[94:95], v[22:23], v[94:95]                  // 000000006570: D3B1405E 1802BD16
	v_pk_mul_f32 v[96:97], v[22:23], v[96:97]                  // 000000006578: D3B14060 1802C116
	v_pk_mul_f32 v[98:99], v[22:23], v[98:99]                  // 000000006580: D3B14062 1802C516
	v_pk_mul_f32 v[100:101], v[22:23], v[100:101]              // 000000006588: D3B14064 1802C916
	v_pk_mul_f32 v[102:103], v[22:23], v[102:103]              // 000000006590: D3B14066 1802CD16
	v_pk_mul_f32 v[104:105], v[22:23], v[104:105]              // 000000006598: D3B14068 1802D116
	v_pk_mul_f32 v[106:107], v[22:23], v[106:107]              // 0000000065A0: D3B1406A 1802D516
	v_pk_mul_f32 v[108:109], v[22:23], v[108:109]              // 0000000065A8: D3B1406C 1802D916
	v_pk_mul_f32 v[110:111], v[22:23], v[110:111]              // 0000000065B0: D3B1406E 1802DD16
	v_pk_mul_f32 v[112:113], v[22:23], v[112:113]              // 0000000065B8: D3B14070 1802E116
	v_pk_mul_f32 v[114:115], v[22:23], v[114:115]              // 0000000065C0: D3B14072 1802E516
	v_pk_mul_f32 v[116:117], v[22:23], v[116:117]              // 0000000065C8: D3B14074 1802E916
	v_pk_mul_f32 v[118:119], v[22:23], v[118:119]              // 0000000065D0: D3B14076 1802ED16
	v_pk_mul_f32 v[120:121], v[22:23], v[120:121]              // 0000000065D8: D3B14078 1802F116
	v_pk_mul_f32 v[122:123], v[22:23], v[122:123]              // 0000000065E0: D3B1407A 1802F516
	v_pk_mul_f32 v[124:125], v[22:23], v[124:125]              // 0000000065E8: D3B1407C 1802F916
	v_pk_mul_f32 v[126:127], v[22:23], v[126:127]              // 0000000065F0: D3B1407E 1802FD16
	v_pk_mul_f32 v[128:129], v[22:23], v[128:129]              // 0000000065F8: D3B14080 18030116
	v_pk_mul_f32 v[130:131], v[22:23], v[130:131]              // 000000006600: D3B14082 18030516
	v_pk_mul_f32 v[132:133], v[22:23], v[132:133]              // 000000006608: D3B14084 18030916
	v_pk_mul_f32 v[134:135], v[22:23], v[134:135]              // 000000006610: D3B14086 18030D16
	v_pk_mul_f32 v[136:137], v[22:23], v[136:137]              // 000000006618: D3B14088 18031116
	v_pk_mul_f32 v[138:139], v[22:23], v[138:139]              // 000000006620: D3B1408A 18031516
	v_pk_mul_f32 v[140:141], v[22:23], v[140:141]              // 000000006628: D3B1408C 18031916
	v_pk_mul_f32 v[142:143], v[22:23], v[142:143]              // 000000006630: D3B1408E 18031D16
	v_pk_mul_f32 v[144:145], v[22:23], v[144:145]              // 000000006638: D3B14090 18032116
	v_pk_mul_f32 v[146:147], v[22:23], v[146:147]              // 000000006640: D3B14092 18032516
	v_pk_mul_f32 v[148:149], v[22:23], v[148:149]              // 000000006648: D3B14094 18032916
	v_pk_mul_f32 v[150:151], v[22:23], v[150:151]              // 000000006650: D3B14096 18032D16
	v_pk_mul_f32 v[152:153], v[22:23], v[152:153]              // 000000006658: D3B14098 18033116
	v_pk_mul_f32 v[154:155], v[22:23], v[154:155]              // 000000006660: D3B1409A 18033516
	v_accvgpr_read_b32 v20, a144                               // 000000006668: D3D84014 18000190
	v_accvgpr_read_b32 v21, a145                               // 000000006670: D3D84015 18000191
	v_pk_mul_f32 v[20:21], v[22:23], v[20:21]                  // 000000006678: D3B14014 18022916
	v_accvgpr_write_b32 a144, v20                              // 000000006680: D3D94090 18000114
	v_accvgpr_write_b32 a145, v21                              // 000000006688: D3D94091 18000115
	v_accvgpr_read_b32 v20, a146                               // 000000006690: D3D84014 18000192
	v_accvgpr_read_b32 v21, a147                               // 000000006698: D3D84015 18000193
	v_pk_mul_f32 v[20:21], v[22:23], v[20:21]                  // 0000000066A0: D3B14014 18022916
	v_accvgpr_write_b32 a146, v20                              // 0000000066A8: D3D94092 18000114
	v_accvgpr_write_b32 a147, v21                              // 0000000066B0: D3D94093 18000115
	v_accvgpr_read_b32 v20, a148                               // 0000000066B8: D3D84014 18000194
	v_accvgpr_read_b32 v21, a149                               // 0000000066C0: D3D84015 18000195
	v_pk_mul_f32 v[20:21], v[22:23], v[20:21]                  // 0000000066C8: D3B14014 18022916
	v_accvgpr_write_b32 a148, v20                              // 0000000066D0: D3D94094 18000114
	v_accvgpr_write_b32 a149, v21                              // 0000000066D8: D3D94095 18000115
	v_accvgpr_read_b32 v20, a150                               // 0000000066E0: D3D84014 18000196
	v_accvgpr_read_b32 v21, a151                               // 0000000066E8: D3D84015 18000197
	v_pk_mul_f32 v[20:21], v[22:23], v[20:21]                  // 0000000066F0: D3B14014 18022916
	v_accvgpr_write_b32 a150, v20                              // 0000000066F8: D3D94096 18000114
	v_accvgpr_write_b32 a151, v21                              // 000000006700: D3D94097 18000115
	v_accvgpr_read_b32 v20, a152                               // 000000006708: D3D84014 18000198
	v_accvgpr_read_b32 v21, a153                               // 000000006710: D3D84015 18000199
	v_pk_mul_f32 v[20:21], v[22:23], v[20:21]                  // 000000006718: D3B14014 18022916
	v_accvgpr_write_b32 a152, v20                              // 000000006720: D3D94098 18000114
	v_accvgpr_write_b32 a153, v21                              // 000000006728: D3D94099 18000115
	v_accvgpr_read_b32 v20, a154                               // 000000006730: D3D84014 1800019A
	v_accvgpr_read_b32 v21, a155                               // 000000006738: D3D84015 1800019B
	v_pk_mul_f32 v[20:21], v[22:23], v[20:21]                  // 000000006740: D3B14014 18022916
	v_accvgpr_write_b32 a154, v20                              // 000000006748: D3D9409A 18000114
	v_accvgpr_write_b32 a155, v21                              // 000000006750: D3D9409B 18000115
	v_accvgpr_read_b32 v20, a156                               // 000000006758: D3D84014 1800019C
	v_accvgpr_read_b32 v21, a157                               // 000000006760: D3D84015 1800019D
	v_pk_mul_f32 v[20:21], v[22:23], v[20:21]                  // 000000006768: D3B14014 18022916
	v_accvgpr_write_b32 a156, v20                              // 000000006770: D3D9409C 18000114
	v_accvgpr_write_b32 a157, v21                              // 000000006778: D3D9409D 18000115
	v_accvgpr_read_b32 v20, a158                               // 000000006780: D3D84014 1800019E
	v_accvgpr_read_b32 v21, a159                               // 000000006788: D3D84015 1800019F
	v_pk_mul_f32 v[20:21], v[22:23], v[20:21]                  // 000000006790: D3B14014 18022916
	v_accvgpr_write_b32 a158, v20                              // 000000006798: D3D9409E 18000114
	v_accvgpr_write_b32 a159, v21                              // 0000000067A0: D3D9409F 18000115
	v_accvgpr_read_b32 v20, a160                               // 0000000067A8: D3D84014 180001A0
	v_accvgpr_read_b32 v21, a161                               // 0000000067B0: D3D84015 180001A1
	v_pk_mul_f32 v[20:21], v[22:23], v[20:21]                  // 0000000067B8: D3B14014 18022916
	v_accvgpr_write_b32 a160, v20                              // 0000000067C0: D3D940A0 18000114
	v_accvgpr_write_b32 a161, v21                              // 0000000067C8: D3D940A1 18000115
	v_accvgpr_read_b32 v20, a162                               // 0000000067D0: D3D84014 180001A2
	v_accvgpr_read_b32 v21, a163                               // 0000000067D8: D3D84015 180001A3
	v_pk_mul_f32 v[20:21], v[22:23], v[20:21]                  // 0000000067E0: D3B14014 18022916
	v_accvgpr_write_b32 a162, v20                              // 0000000067E8: D3D940A2 18000114
	v_accvgpr_write_b32 a163, v21                              // 0000000067F0: D3D940A3 18000115
	v_accvgpr_read_b32 v20, a164                               // 0000000067F8: D3D84014 180001A4
	v_accvgpr_read_b32 v21, a165                               // 000000006800: D3D84015 180001A5
	v_pk_mul_f32 v[20:21], v[22:23], v[20:21]                  // 000000006808: D3B14014 18022916
	v_accvgpr_write_b32 a164, v20                              // 000000006810: D3D940A4 18000114
	v_accvgpr_write_b32 a165, v21                              // 000000006818: D3D940A5 18000115
	v_accvgpr_read_b32 v20, a166                               // 000000006820: D3D84014 180001A6
	v_accvgpr_read_b32 v21, a167                               // 000000006828: D3D84015 180001A7
	v_pk_mul_f32 v[20:21], v[22:23], v[20:21]                  // 000000006830: D3B14014 18022916
	v_accvgpr_write_b32 a166, v20                              // 000000006838: D3D940A6 18000114
	v_accvgpr_write_b32 a167, v21                              // 000000006840: D3D940A7 18000115
	v_accvgpr_read_b32 v20, a168                               // 000000006848: D3D84014 180001A8
	v_accvgpr_read_b32 v21, a169                               // 000000006850: D3D84015 180001A9
	v_pk_mul_f32 v[20:21], v[22:23], v[20:21]                  // 000000006858: D3B14014 18022916
	v_accvgpr_write_b32 a168, v20                              // 000000006860: D3D940A8 18000114
	v_accvgpr_write_b32 a169, v21                              // 000000006868: D3D940A9 18000115
	v_accvgpr_read_b32 v20, a170                               // 000000006870: D3D84014 180001AA
	v_accvgpr_read_b32 v21, a171                               // 000000006878: D3D84015 180001AB
	v_pk_mul_f32 v[20:21], v[22:23], v[20:21]                  // 000000006880: D3B14014 18022916
	v_accvgpr_write_b32 a170, v20                              // 000000006888: D3D940AA 18000114
	v_accvgpr_write_b32 a171, v21                              // 000000006890: D3D940AB 18000115
	s_waitcnt lgkmcnt(0)                                       // 000000006898: BF8CC07F
	v_mfma_f32_16x16x32_fp8_fp8 v[56:59], a[72:73], v[40:41], v[56:59]// 00000000689C: D3F30038 0CE25148
	v_mfma_f32_16x16x32_fp8_fp8 v[60:63], a[74:75], v[40:41], v[60:63]// 0000000068A4: D3F3003C 0CF2514A
	ds_read_b128 a[104:107], v7 offset:45312                   // 0000000068AC: DBFEB100 68000007
	ds_read_b128 a[108:111], v7 offset:46336                   // 0000000068B4: DBFEB500 6C000007
	v_mfma_f32_16x16x32_fp8_fp8 v[64:67], a[76:77], v[40:41], v[64:67]// 0000000068BC: D3F30040 0D02514C
	v_mfma_f32_16x16x32_fp8_fp8 v[68:71], a[78:79], v[40:41], v[68:71]// 0000000068C4: D3F30044 0D12514E
	v_mfma_f32_16x16x32_fp8_fp8 v[72:75], a[80:81], v[40:41], v[72:75]// 0000000068CC: D3F30048 0D225150
	v_mfma_f32_16x16x32_fp8_fp8 v[76:79], a[82:83], v[40:41], v[76:79]// 0000000068D4: D3F3004C 0D325152
	ds_read_b128 a[112:115], v7 offset:47360                   // 0000000068DC: DBFEB900 70000007
	ds_read_b128 a[116:119], v7 offset:48384                   // 0000000068E4: DBFEBD00 74000007
	v_mfma_f32_16x16x32_fp8_fp8 v[80:83], a[84:85], v[40:41], v[80:83]// 0000000068EC: D3F30050 0D425154
	v_mfma_f32_16x16x32_fp8_fp8 v[84:87], a[86:87], v[40:41], v[84:87]// 0000000068F4: D3F30054 0D525156
	v_mfma_f32_16x16x32_fp8_fp8 v[88:91], a[88:89], v[40:41], v[88:91]// 0000000068FC: D3F30058 0D625158
	v_mfma_f32_16x16x32_fp8_fp8 v[92:95], a[90:91], v[40:41], v[92:95]// 000000006904: D3F3005C 0D72515A
	ds_read_b128 a[120:123], v7 offset:49408                   // 00000000690C: DBFEC100 78000007
	ds_read_b128 a[124:127], v7 offset:50432                   // 000000006914: DBFEC500 7C000007
	v_mfma_f32_16x16x32_fp8_fp8 v[96:99], a[92:93], v[40:41], v[96:99]// 00000000691C: D3F30060 0D82515C
	v_mfma_f32_16x16x32_fp8_fp8 v[100:103], a[94:95], v[40:41], v[100:103]// 000000006924: D3F30064 0D92515E
	v_mfma_f32_16x16x32_fp8_fp8 v[104:107], a[96:97], v[40:41], v[104:107]// 00000000692C: D3F30068 0DA25160
	v_mfma_f32_16x16x32_fp8_fp8 v[108:111], a[98:99], v[40:41], v[108:111]// 000000006934: D3F3006C 0DB25162
	ds_read_b128 a[128:131], v7 offset:51456                   // 00000000693C: DBFEC900 80000007
	ds_read_b128 a[132:135], v7 offset:52480                   // 000000006944: DBFECD00 84000007
	v_mfma_f32_16x16x32_fp8_fp8 v[112:115], a[100:101], v[40:41], v[112:115]// 00000000694C: D3F30070 0DC25164
	v_mfma_f32_16x16x32_fp8_fp8 v[116:119], a[102:103], v[40:41], v[116:119]// 000000006954: D3F30074 0DD25166
	s_waitcnt lgkmcnt(4)                                       // 00000000695C: BF8CC47F
	v_mfma_f32_16x16x32_fp8_fp8 v[120:123], a[104:105], v[40:41], v[120:123]// 000000006960: D3F30078 0DE25168
	v_max3_f32 v24, v48, v49, v48                              // 000000006968: D1D30018 04C26330
	v_max3_f32 v24, v50, v51, v24                              // 000000006970: D1D30018 04626732
	v_max3_f32 v24, v52, v53, v24                              // 000000006978: D1D30018 04626B34
	v_max3_f32 v24, v54, v55, v24                              // 000000006980: D1D30018 04626F36
	ds_write_b32 v3, v24 offset:54528                          // 000000006988: D81AD500 00001803
	v_mfma_f32_16x16x32_fp8_fp8 v[124:127], a[106:107], v[40:41], v[124:127]// 000000006990: D3F3007C 0DF2516A
	v_mfma_f32_16x16x32_fp8_fp8 v[128:131], a[108:109], v[40:41], v[128:131]// 000000006998: D3F30080 0E02516C
	v_mfma_f32_16x16x32_fp8_fp8 v[132:135], a[110:111], v[40:41], v[132:135]// 0000000069A0: D3F30084 0E12516E
	v_mfma_f32_16x16x32_fp8_fp8 v[136:139], a[112:113], v[40:41], v[136:139]// 0000000069A8: D3F30088 0E225170
	v_mfma_f32_16x16x32_fp8_fp8 v[140:143], a[114:115], v[40:41], v[140:143]// 0000000069B0: D3F3008C 0E325172
	v_mfma_f32_16x16x32_fp8_fp8 v[144:147], a[116:117], v[40:41], v[144:147]// 0000000069B8: D3F30090 0E425174
	v_mfma_f32_16x16x32_fp8_fp8 v[148:151], a[118:119], v[40:41], v[148:151]// 0000000069C0: D3F30094 0E525176
	s_waitcnt lgkmcnt(0)                                       // 0000000069C8: BF8CC07F
	v_mfma_f32_16x16x32_fp8_fp8 v[152:155], a[120:121], v[40:41], v[152:155]// 0000000069CC: D3F30098 0E625178
	s_waitcnt lgkmcnt(0)                                       // 0000000069D4: BF8CC07F
	ds_read_b32 v20, v2 offset:54528                           // 0000000069D8: D86CD500 14000002
	ds_read_b32 v21, v2 offset:54592                           // 0000000069E0: D86CD540 15000002
	v_mfma_f32_16x16x32_fp8_fp8 a[144:147], a[122:123], v[40:41], a[144:147]// 0000000069E8: D3F38090 0E42517A
	ds_read_b32 v22, v2 offset:54656                           // 0000000069F0: D86CD580 16000002
	ds_read_b32 v23, v2 offset:54720                           // 0000000069F8: D86CD5C0 17000002
	v_mfma_f32_16x16x32_fp8_fp8 a[148:151], a[124:125], v[40:41], a[148:151]// 000000006A00: D3F38094 0E52517C
	v_mfma_f32_16x16x32_fp8_fp8 a[152:155], a[126:127], v[40:41], a[152:155]// 000000006A08: D3F38098 0E62517E
	v_mfma_f32_16x16x32_fp8_fp8 a[156:159], a[128:129], v[40:41], a[156:159]// 000000006A10: D3F3809C 0E725180
	v_mfma_f32_16x16x32_fp8_fp8 a[160:163], a[130:131], v[40:41], a[160:163]// 000000006A18: D3F380A0 0E825182
	v_mfma_f32_16x16x32_fp8_fp8 a[164:167], a[132:133], v[40:41], a[164:167]// 000000006A20: D3F380A4 0E925184
	v_mfma_f32_16x16x32_fp8_fp8 a[168:171], a[134:135], v[40:41], a[168:171]// 000000006A28: D3F380A8 0EA25186
	s_waitcnt lgkmcnt(0)                                       // 000000006A30: BF8CC07F
	v_max3_f32 v24, v20, v21, v24                              // 000000006A34: D1D30018 04622B14
	v_max3_f32 v24, v22, v23, v24                              // 000000006A3C: D1D30018 04622F16
	v_mov_b32_e32 v25, 0xff7fffff                              // 000000006A44: 7E3202FF FF7FFFFF
	v_cmp_eq_u32_e64 s[38:39], v25, v13                        // 000000006A4C: D0CA0026 00021B19
	v_max_f32_e32 v20, v24, v13                                // 000000006A54: 16281B18
	v_sub_f32_e32 v17, v13, v20                                // 000000006A58: 0422290D
	v_cndmask_b32_e64 v17, v17, 0, s[38:39]                    // 000000006A5C: D1000011 00990111
	v_mov_b32_e32 v13, v20                                     // 000000006A64: 7E1A0314
	v_mul_f32_e32 v21, s5, v20                                 // 000000006A68: 0A2A2805
	v_mul_f32_e32 v17, s5, v17                                 // 000000006A6C: 0A222205
	v_exp_f32_e32 v17, v17                                     // 000000006A70: 7E224111
	v_fma_f32 v48, v48, s5, -v21                               // 000000006A74: D1CB0030 84540B30
	v_fma_f32 v49, v49, s5, -v21                               // 000000006A7C: D1CB0031 84540B31
	v_fma_f32 v50, v50, s5, -v21                               // 000000006A84: D1CB0032 84540B32
	v_fma_f32 v51, v51, s5, -v21                               // 000000006A8C: D1CB0033 84540B33
	v_fma_f32 v52, v52, s5, -v21                               // 000000006A94: D1CB0034 84540B34
	v_fma_f32 v53, v53, s5, -v21                               // 000000006A9C: D1CB0035 84540B35
	v_fma_f32 v54, v54, s5, -v21                               // 000000006AA4: D1CB0036 84540B36
	v_fma_f32 v55, v55, s5, -v21                               // 000000006AAC: D1CB0037 84540B37
	v_exp_f32_e32 v48, v48                                     // 000000006AB4: 7E604130
	v_exp_f32_e32 v49, v49                                     // 000000006AB8: 7E624131
	v_exp_f32_e32 v50, v50                                     // 000000006ABC: 7E644132
	v_exp_f32_e32 v51, v51                                     // 000000006AC0: 7E664133
	v_exp_f32_e32 v52, v52                                     // 000000006AC4: 7E684134
	v_exp_f32_e32 v53, v53                                     // 000000006AC8: 7E6A4135
	v_exp_f32_e32 v54, v54                                     // 000000006ACC: 7E6C4136
	v_exp_f32_e32 v55, v55                                     // 000000006AD0: 7E6E4137
	v_mul_f32_e32 v15, v17, v15                                // 000000006AD4: 0A1E1F11
	v_mov_b32_e32 v22, v48                                     // 000000006AD8: 7E2C0330
	v_add_f32_e32 v22, v49, v22                                // 000000006ADC: 022C2D31
	v_add_f32_e32 v22, v50, v22                                // 000000006AE0: 022C2D32
	v_add_f32_e32 v22, v51, v22                                // 000000006AE4: 022C2D33
	v_add_f32_e32 v22, v52, v22                                // 000000006AE8: 022C2D34
	v_add_f32_e32 v22, v53, v22                                // 000000006AEC: 022C2D35
	v_add_f32_e32 v22, v54, v22                                // 000000006AF0: 022C2D36
	v_add_f32_e32 v22, v55, v22                                // 000000006AF4: 022C2D37
	v_add_f32_e32 v15, v22, v15                                // 000000006AF8: 021E1F16
	v_cvt_pk_fp8_f32 v42, v48, v49                             // 000000006AFC: D2A2002A 00026330
	v_cvt_pk_fp8_f32 v42, v50, v51 op_sel:[0,0,1]              // 000000006B04: D2A2402A 00026732
	v_cvt_pk_fp8_f32 v43, v52, v53                             // 000000006B0C: D2A2002B 00026B34
	v_cvt_pk_fp8_f32 v43, v54, v55 op_sel:[0,0,1]              // 000000006B14: D2A2402B 00026F36
	s_nop 0                                                    // 000000006B1C: BF800000
	v_mov_b32_e32 v22, v17                                     // 000000006B20: 7E2C0311
	v_mov_b32_e32 v23, v17                                     // 000000006B24: 7E2E0311
	v_pk_mul_f32 v[156:157], v[22:23], v[156:157]              // 000000006B28: D3B1409C 18033916
	v_pk_mul_f32 v[158:159], v[22:23], v[158:159]              // 000000006B30: D3B1409E 18033D16
	v_pk_mul_f32 v[160:161], v[22:23], v[160:161]              // 000000006B38: D3B140A0 18034116
	v_pk_mul_f32 v[162:163], v[22:23], v[162:163]              // 000000006B40: D3B140A2 18034516
	v_pk_mul_f32 v[164:165], v[22:23], v[164:165]              // 000000006B48: D3B140A4 18034916
	v_pk_mul_f32 v[166:167], v[22:23], v[166:167]              // 000000006B50: D3B140A6 18034D16
	v_pk_mul_f32 v[168:169], v[22:23], v[168:169]              // 000000006B58: D3B140A8 18035116
	v_pk_mul_f32 v[170:171], v[22:23], v[170:171]              // 000000006B60: D3B140AA 18035516
	v_pk_mul_f32 v[172:173], v[22:23], v[172:173]              // 000000006B68: D3B140AC 18035916
	v_pk_mul_f32 v[174:175], v[22:23], v[174:175]              // 000000006B70: D3B140AE 18035D16
	v_pk_mul_f32 v[176:177], v[22:23], v[176:177]              // 000000006B78: D3B140B0 18036116
	v_pk_mul_f32 v[178:179], v[22:23], v[178:179]              // 000000006B80: D3B140B2 18036516
	v_pk_mul_f32 v[180:181], v[22:23], v[180:181]              // 000000006B88: D3B140B4 18036916
	v_pk_mul_f32 v[182:183], v[22:23], v[182:183]              // 000000006B90: D3B140B6 18036D16
	v_pk_mul_f32 v[184:185], v[22:23], v[184:185]              // 000000006B98: D3B140B8 18037116
	v_pk_mul_f32 v[186:187], v[22:23], v[186:187]              // 000000006BA0: D3B140BA 18037516
	v_pk_mul_f32 v[188:189], v[22:23], v[188:189]              // 000000006BA8: D3B140BC 18037916
	v_pk_mul_f32 v[190:191], v[22:23], v[190:191]              // 000000006BB0: D3B140BE 18037D16
	v_pk_mul_f32 v[192:193], v[22:23], v[192:193]              // 000000006BB8: D3B140C0 18038116
	v_pk_mul_f32 v[194:195], v[22:23], v[194:195]              // 000000006BC0: D3B140C2 18038516
	v_pk_mul_f32 v[196:197], v[22:23], v[196:197]              // 000000006BC8: D3B140C4 18038916
	v_pk_mul_f32 v[198:199], v[22:23], v[198:199]              // 000000006BD0: D3B140C6 18038D16
	v_pk_mul_f32 v[200:201], v[22:23], v[200:201]              // 000000006BD8: D3B140C8 18039116
	v_pk_mul_f32 v[202:203], v[22:23], v[202:203]              // 000000006BE0: D3B140CA 18039516
	v_pk_mul_f32 v[204:205], v[22:23], v[204:205]              // 000000006BE8: D3B140CC 18039916
	v_pk_mul_f32 v[206:207], v[22:23], v[206:207]              // 000000006BF0: D3B140CE 18039D16
	v_pk_mul_f32 v[208:209], v[22:23], v[208:209]              // 000000006BF8: D3B140D0 1803A116
	v_pk_mul_f32 v[210:211], v[22:23], v[210:211]              // 000000006C00: D3B140D2 1803A516
	v_pk_mul_f32 v[212:213], v[22:23], v[212:213]              // 000000006C08: D3B140D4 1803A916
	v_pk_mul_f32 v[214:215], v[22:23], v[214:215]              // 000000006C10: D3B140D6 1803AD16
	v_pk_mul_f32 v[216:217], v[22:23], v[216:217]              // 000000006C18: D3B140D8 1803B116
	v_pk_mul_f32 v[218:219], v[22:23], v[218:219]              // 000000006C20: D3B140DA 1803B516
	v_pk_mul_f32 v[220:221], v[22:23], v[220:221]              // 000000006C28: D3B140DC 1803B916
	v_pk_mul_f32 v[222:223], v[22:23], v[222:223]              // 000000006C30: D3B140DE 1803BD16
	v_pk_mul_f32 v[224:225], v[22:23], v[224:225]              // 000000006C38: D3B140E0 1803C116
	v_pk_mul_f32 v[226:227], v[22:23], v[226:227]              // 000000006C40: D3B140E2 1803C516
	v_pk_mul_f32 v[228:229], v[22:23], v[228:229]              // 000000006C48: D3B140E4 1803C916
	v_pk_mul_f32 v[230:231], v[22:23], v[230:231]              // 000000006C50: D3B140E6 1803CD16
	v_pk_mul_f32 v[232:233], v[22:23], v[232:233]              // 000000006C58: D3B140E8 1803D116
	v_pk_mul_f32 v[234:235], v[22:23], v[234:235]              // 000000006C60: D3B140EA 1803D516
	v_pk_mul_f32 v[236:237], v[22:23], v[236:237]              // 000000006C68: D3B140EC 1803D916
	v_pk_mul_f32 v[238:239], v[22:23], v[238:239]              // 000000006C70: D3B140EE 1803DD16
	v_pk_mul_f32 v[240:241], v[22:23], v[240:241]              // 000000006C78: D3B140F0 1803E116
	v_pk_mul_f32 v[242:243], v[22:23], v[242:243]              // 000000006C80: D3B140F2 1803E516
	v_pk_mul_f32 v[244:245], v[22:23], v[244:245]              // 000000006C88: D3B140F4 1803E916
	v_pk_mul_f32 v[246:247], v[22:23], v[246:247]              // 000000006C90: D3B140F6 1803ED16
	v_pk_mul_f32 v[248:249], v[22:23], v[248:249]              // 000000006C98: D3B140F8 1803F116
	v_pk_mul_f32 v[250:251], v[22:23], v[250:251]              // 000000006CA0: D3B140FA 1803F516
	v_pk_mul_f32 v[252:253], v[22:23], v[252:253]              // 000000006CA8: D3B140FC 1803F916
	v_pk_mul_f32 v[254:255], v[22:23], v[254:255]              // 000000006CB0: D3B140FE 1803FD16
	v_accvgpr_read_b32 v20, a172                               // 000000006CB8: D3D84014 180001AC
	v_accvgpr_read_b32 v21, a173                               // 000000006CC0: D3D84015 180001AD
	v_pk_mul_f32 v[20:21], v[22:23], v[20:21]                  // 000000006CC8: D3B14014 18022916
	v_accvgpr_write_b32 a172, v20                              // 000000006CD0: D3D940AC 18000114
	v_accvgpr_write_b32 a173, v21                              // 000000006CD8: D3D940AD 18000115
	v_accvgpr_read_b32 v20, a174                               // 000000006CE0: D3D84014 180001AE
	v_accvgpr_read_b32 v21, a175                               // 000000006CE8: D3D84015 180001AF
	v_pk_mul_f32 v[20:21], v[22:23], v[20:21]                  // 000000006CF0: D3B14014 18022916
	v_accvgpr_write_b32 a174, v20                              // 000000006CF8: D3D940AE 18000114
	v_accvgpr_write_b32 a175, v21                              // 000000006D00: D3D940AF 18000115
	v_accvgpr_read_b32 v20, a176                               // 000000006D08: D3D84014 180001B0
	v_accvgpr_read_b32 v21, a177                               // 000000006D10: D3D84015 180001B1
	v_pk_mul_f32 v[20:21], v[22:23], v[20:21]                  // 000000006D18: D3B14014 18022916
	v_accvgpr_write_b32 a176, v20                              // 000000006D20: D3D940B0 18000114
	v_accvgpr_write_b32 a177, v21                              // 000000006D28: D3D940B1 18000115
	v_accvgpr_read_b32 v20, a178                               // 000000006D30: D3D84014 180001B2
	v_accvgpr_read_b32 v21, a179                               // 000000006D38: D3D84015 180001B3
	v_pk_mul_f32 v[20:21], v[22:23], v[20:21]                  // 000000006D40: D3B14014 18022916
	v_accvgpr_write_b32 a178, v20                              // 000000006D48: D3D940B2 18000114
	v_accvgpr_write_b32 a179, v21                              // 000000006D50: D3D940B3 18000115
	v_accvgpr_read_b32 v20, a180                               // 000000006D58: D3D84014 180001B4
	v_accvgpr_read_b32 v21, a181                               // 000000006D60: D3D84015 180001B5
	v_pk_mul_f32 v[20:21], v[22:23], v[20:21]                  // 000000006D68: D3B14014 18022916
	v_accvgpr_write_b32 a180, v20                              // 000000006D70: D3D940B4 18000114
	v_accvgpr_write_b32 a181, v21                              // 000000006D78: D3D940B5 18000115
	v_accvgpr_read_b32 v20, a182                               // 000000006D80: D3D84014 180001B6
	v_accvgpr_read_b32 v21, a183                               // 000000006D88: D3D84015 180001B7
	v_pk_mul_f32 v[20:21], v[22:23], v[20:21]                  // 000000006D90: D3B14014 18022916
	v_accvgpr_write_b32 a182, v20                              // 000000006D98: D3D940B6 18000114
	v_accvgpr_write_b32 a183, v21                              // 000000006DA0: D3D940B7 18000115
	v_accvgpr_read_b32 v20, a184                               // 000000006DA8: D3D84014 180001B8
	v_accvgpr_read_b32 v21, a185                               // 000000006DB0: D3D84015 180001B9
	v_pk_mul_f32 v[20:21], v[22:23], v[20:21]                  // 000000006DB8: D3B14014 18022916
	v_accvgpr_write_b32 a184, v20                              // 000000006DC0: D3D940B8 18000114
	v_accvgpr_write_b32 a185, v21                              // 000000006DC8: D3D940B9 18000115
	v_accvgpr_read_b32 v20, a186                               // 000000006DD0: D3D84014 180001BA
	v_accvgpr_read_b32 v21, a187                               // 000000006DD8: D3D84015 180001BB
	v_pk_mul_f32 v[20:21], v[22:23], v[20:21]                  // 000000006DE0: D3B14014 18022916
	v_accvgpr_write_b32 a186, v20                              // 000000006DE8: D3D940BA 18000114
	v_accvgpr_write_b32 a187, v21                              // 000000006DF0: D3D940BB 18000115
	v_accvgpr_read_b32 v20, a188                               // 000000006DF8: D3D84014 180001BC
	v_accvgpr_read_b32 v21, a189                               // 000000006E00: D3D84015 180001BD
	v_pk_mul_f32 v[20:21], v[22:23], v[20:21]                  // 000000006E08: D3B14014 18022916
	v_accvgpr_write_b32 a188, v20                              // 000000006E10: D3D940BC 18000114
	v_accvgpr_write_b32 a189, v21                              // 000000006E18: D3D940BD 18000115
	v_accvgpr_read_b32 v20, a190                               // 000000006E20: D3D84014 180001BE
	v_accvgpr_read_b32 v21, a191                               // 000000006E28: D3D84015 180001BF
	v_pk_mul_f32 v[20:21], v[22:23], v[20:21]                  // 000000006E30: D3B14014 18022916
	v_accvgpr_write_b32 a190, v20                              // 000000006E38: D3D940BE 18000114
	v_accvgpr_write_b32 a191, v21                              // 000000006E40: D3D940BF 18000115
	v_accvgpr_read_b32 v20, a192                               // 000000006E48: D3D84014 180001C0
	v_accvgpr_read_b32 v21, a193                               // 000000006E50: D3D84015 180001C1
	v_pk_mul_f32 v[20:21], v[22:23], v[20:21]                  // 000000006E58: D3B14014 18022916
	v_accvgpr_write_b32 a192, v20                              // 000000006E60: D3D940C0 18000114
	v_accvgpr_write_b32 a193, v21                              // 000000006E68: D3D940C1 18000115
	v_accvgpr_read_b32 v20, a194                               // 000000006E70: D3D84014 180001C2
	v_accvgpr_read_b32 v21, a195                               // 000000006E78: D3D84015 180001C3
	v_pk_mul_f32 v[20:21], v[22:23], v[20:21]                  // 000000006E80: D3B14014 18022916
	v_accvgpr_write_b32 a194, v20                              // 000000006E88: D3D940C2 18000114
	v_accvgpr_write_b32 a195, v21                              // 000000006E90: D3D940C3 18000115
	v_accvgpr_read_b32 v20, a196                               // 000000006E98: D3D84014 180001C4
	v_accvgpr_read_b32 v21, a197                               // 000000006EA0: D3D84015 180001C5
	v_pk_mul_f32 v[20:21], v[22:23], v[20:21]                  // 000000006EA8: D3B14014 18022916
	v_accvgpr_write_b32 a196, v20                              // 000000006EB0: D3D940C4 18000114
	v_accvgpr_write_b32 a197, v21                              // 000000006EB8: D3D940C5 18000115
	v_accvgpr_read_b32 v20, a198                               // 000000006EC0: D3D84014 180001C6
	v_accvgpr_read_b32 v21, a199                               // 000000006EC8: D3D84015 180001C7
	v_pk_mul_f32 v[20:21], v[22:23], v[20:21]                  // 000000006ED0: D3B14014 18022916
	v_accvgpr_write_b32 a198, v20                              // 000000006ED8: D3D940C6 18000114
	v_accvgpr_write_b32 a199, v21                              // 000000006EE0: D3D940C7 18000115
	s_waitcnt vmcnt(18) lgkmcnt(0)                             // 000000006EE8: BF8C4072
	s_barrier                                                  // 000000006EEC: BF8A0000
	v_mfma_f32_16x16x32_fp8_fp8 v[156:159], a[72:73], v[42:43], v[156:159]// 000000006EF0: D3F3009C 0E725548
	ds_read_b32 v20, v5 offset:18560                           // 000000006EF8: D86C4880 14000005
	ds_read_b32 v21, v5 offset:23200                           // 000000006F00: D86C5AA0 15000005
	ds_read_b32 v22, v5 offset:27840                           // 000000006F08: D86C6CC0 16000005
	ds_read_b32 v23, v5 offset:32480                           // 000000006F10: D86C7EE0 17000005
	v_mfma_f32_16x16x32_fp8_fp8 v[160:163], a[74:75], v[42:43], v[160:163]// 000000006F18: D3F300A0 0E82554A
	v_mfma_f32_16x16x32_fp8_fp8 v[164:167], a[76:77], v[42:43], v[164:167]// 000000006F20: D3F300A4 0E92554C
	ds_read_b32 v24, v5 offset:18688                           // 000000006F28: D86C4900 18000005
	ds_read_b32 v25, v5 offset:23328                           // 000000006F30: D86C5B20 19000005
	ds_read_b32 v26, v5 offset:27968                           // 000000006F38: D86C6D40 1A000005
	ds_read_b32 v27, v5 offset:32608                           // 000000006F40: D86C7F60 1B000005
	v_mfma_f32_16x16x32_fp8_fp8 v[168:171], a[78:79], v[42:43], v[168:171]// 000000006F48: D3F300A8 0EA2554E
	v_mfma_f32_16x16x32_fp8_fp8 v[172:175], a[80:81], v[42:43], v[172:175]// 000000006F50: D3F300AC 0EB25550
	ds_read_b128 a[72:75], v4 offset:18560                     // 000000006F58: DBFE4880 48000004
	ds_read_b128 a[76:79], v4 offset:18816                     // 000000006F60: DBFE4980 4C000004
	v_mfma_f32_16x16x32_fp8_fp8 v[176:179], a[82:83], v[42:43], v[176:179]// 000000006F68: D3F300B0 0EC25552
	v_mfma_f32_16x16x32_fp8_fp8 v[180:183], a[84:85], v[42:43], v[180:183]// 000000006F70: D3F300B4 0ED25554
	s_waitcnt lgkmcnt(2)                                       // 000000006F78: BF8CC27F
	v_perm_b32 v32, v22, v20, s52                              // 000000006F7C: D1ED0020 00D22916
	v_perm_b32 v33, v22, v20, s53                              // 000000006F84: D1ED0021 00D62916
	v_perm_b32 v34, v23, v21, s52                              // 000000006F8C: D1ED0022 00D22B17
	v_perm_b32 v35, v23, v21, s53                              // 000000006F94: D1ED0023 00D62B17
	v_perm_b32 v28, v34, v32, s54                              // 000000006F9C: D1ED001C 00DA4122
	v_perm_b32 v36, v34, v32, s55                              // 000000006FA4: D1ED0024 00DE4122
	v_perm_b32 v30, v35, v33, s54                              // 000000006FAC: D1ED001E 00DA4323
	v_perm_b32 v38, v35, v33, s55                              // 000000006FB4: D1ED0026 00DE4323
	v_mfma_f32_16x16x32_fp8_fp8 v[184:187], a[86:87], v[42:43], v[184:187]// 000000006FBC: D3F300B8 0EE25556
	v_mfma_f32_16x16x32_fp8_fp8 v[188:191], a[88:89], v[42:43], v[188:191]// 000000006FC4: D3F300BC 0EF25558
	v_perm_b32 v32, v26, v24, s52                              // 000000006FCC: D1ED0020 00D2311A
	v_perm_b32 v33, v26, v24, s53                              // 000000006FD4: D1ED0021 00D6311A
	v_perm_b32 v34, v27, v25, s52                              // 000000006FDC: D1ED0022 00D2331B
	v_perm_b32 v35, v27, v25, s53                              // 000000006FE4: D1ED0023 00D6331B
	v_perm_b32 v29, v34, v32, s54                              // 000000006FEC: D1ED001D 00DA4122
	v_perm_b32 v37, v34, v32, s55                              // 000000006FF4: D1ED0025 00DE4122
	v_perm_b32 v31, v35, v33, s54                              // 000000006FFC: D1ED001F 00DA4323
	v_perm_b32 v39, v35, v33, s55                              // 000000007004: D1ED0027 00DE4323
	v_mfma_f32_16x16x32_fp8_fp8 v[192:195], a[90:91], v[42:43], v[192:195]// 00000000700C: D3F300C0 0F02555A
	v_mfma_f32_16x16x32_fp8_fp8 v[196:199], a[92:93], v[42:43], v[196:199]// 000000007014: D3F300C4 0F12555C
	ds_write_b128 v6, v[28:31] offset:37120                    // 00000000701C: D9BE9100 00001C06
	v_mfma_f32_16x16x32_fp8_fp8 v[200:203], a[94:95], v[42:43], v[200:203]// 000000007024: D3F300C8 0F22555E
	v_mfma_f32_16x16x32_fp8_fp8 v[204:207], a[96:97], v[42:43], v[204:207]// 00000000702C: D3F300CC 0F325560
	ds_write_b128 v6, v[36:39] offset:38144                    // 000000007034: D9BE9500 00002406
	v_mfma_f32_16x16x32_fp8_fp8 v[208:211], a[98:99], v[42:43], v[208:211]// 00000000703C: D3F300D0 0F425562
	v_mfma_f32_16x16x32_fp8_fp8 v[212:215], a[100:101], v[42:43], v[212:215]// 000000007044: D3F300D4 0F525564
	v_mfma_f32_16x16x32_fp8_fp8 v[216:219], a[102:103], v[42:43], v[216:219]// 00000000704C: D3F300D8 0F625566
	v_mfma_f32_16x16x32_fp8_fp8 v[220:223], a[104:105], v[42:43], v[220:223]// 000000007054: D3F300DC 0F725568
	ds_read_b32 v20, v5 offset:19584                           // 00000000705C: D86C4C80 14000005
	ds_read_b32 v21, v5 offset:24224                           // 000000007064: D86C5EA0 15000005
	ds_read_b32 v22, v5 offset:28864                           // 00000000706C: D86C70C0 16000005
	ds_read_b32 v23, v5 offset:33504                           // 000000007074: D86C82E0 17000005
	v_mfma_f32_16x16x32_fp8_fp8 v[224:227], a[106:107], v[42:43], v[224:227]// 00000000707C: D3F300E0 0F82556A
	v_mfma_f32_16x16x32_fp8_fp8 v[228:231], a[108:109], v[42:43], v[228:231]// 000000007084: D3F300E4 0F92556C
	ds_read_b32 v24, v5 offset:19712                           // 00000000708C: D86C4D00 18000005
	ds_read_b32 v25, v5 offset:24352                           // 000000007094: D86C5F20 19000005
	ds_read_b32 v26, v5 offset:28992                           // 00000000709C: D86C7140 1A000005
	ds_read_b32 v27, v5 offset:33632                           // 0000000070A4: D86C8360 1B000005
	v_mfma_f32_16x16x32_fp8_fp8 v[232:235], a[110:111], v[42:43], v[232:235]// 0000000070AC: D3F300E8 0FA2556E
	v_mfma_f32_16x16x32_fp8_fp8 v[236:239], a[112:113], v[42:43], v[236:239]// 0000000070B4: D3F300EC 0FB25570
	ds_read_b128 a[80:83], v4 offset:19072                     // 0000000070BC: DBFE4A80 50000004
	ds_read_b128 a[84:87], v4 offset:19328                     // 0000000070C4: DBFE4B80 54000004
	v_mfma_f32_16x16x32_fp8_fp8 v[240:243], a[114:115], v[42:43], v[240:243]// 0000000070CC: D3F300F0 0FC25572
	v_mfma_f32_16x16x32_fp8_fp8 v[244:247], a[116:117], v[42:43], v[244:247]// 0000000070D4: D3F300F4 0FD25574
	v_mfma_f32_16x16x32_fp8_fp8 v[248:251], a[118:119], v[42:43], v[248:251]// 0000000070DC: D3F300F8 0FE25576
	v_mfma_f32_16x16x32_fp8_fp8 v[252:255], a[120:121], v[42:43], v[252:255]// 0000000070E4: D3F300FC 0FF25578
	ds_read_b128 a[88:91], v4 offset:19584                     // 0000000070EC: DBFE4C80 58000004
	ds_read_b128 a[92:95], v4 offset:19840                     // 0000000070F4: DBFE4D80 5C000004
	v_mfma_f32_16x16x32_fp8_fp8 a[172:175], a[122:123], v[42:43], a[172:175]// 0000000070FC: D3F380AC 0EB2557A
	v_mfma_f32_16x16x32_fp8_fp8 a[176:179], a[124:125], v[42:43], a[176:179]// 000000007104: D3F380B0 0EC2557C
	v_mfma_f32_16x16x32_fp8_fp8 a[180:183], a[126:127], v[42:43], a[180:183]// 00000000710C: D3F380B4 0ED2557E
	v_mfma_f32_16x16x32_fp8_fp8 a[184:187], a[128:129], v[42:43], a[184:187]// 000000007114: D3F380B8 0EE25580
	ds_read_b128 a[96:99], v4 offset:20096                     // 00000000711C: DBFE4E80 60000004
	ds_read_b128 a[100:103], v4 offset:20352                   // 000000007124: DBFE4F80 64000004
	v_mfma_f32_16x16x32_fp8_fp8 a[188:191], a[130:131], v[42:43], a[188:191]// 00000000712C: D3F380BC 0EF25582
	v_mfma_f32_16x16x32_fp8_fp8 a[192:195], a[132:133], v[42:43], a[192:195]// 000000007134: D3F380C0 0F025584
	v_mfma_f32_16x16x32_fp8_fp8 a[196:199], a[134:135], v[42:43], a[196:199]// 00000000713C: D3F380C4 0F125586
	s_nop 0                                                    // 000000007144: BF800000
	s_addk_i32 s70, 0x1                                        // 000000007148: B7460001
	s_cmp_lt_i32 s70, s71                                      // 00000000714C: BF044746
	s_cbranch_scc0 label_0EF2                                  // 000000007150: BF84FB5D
	s_waitcnt lgkmcnt(4)                                       // 000000007154: BF8CC47F
	v_mfma_f32_16x16x32_fp8_fp8 v[40:43], a[72:73], a[0:1], 0  // 000000007158: D3F30028 1A020148
	buffer_load_dword v11, v8, s[24:27], 0 offen               // 000000007160: E0501000 80060B08
	v_mfma_f32_16x16x32_fp8_fp8 v[40:43], a[74:75], a[2:3], v[40:43]// 000000007168: D3F30028 1CA2054A
	ds_read_b128 a[104:107], v4 offset:20608                   // 000000007170: DBFE5080 68000004
	ds_read_b128 a[108:111], v4 offset:18688                   // 000000007178: DBFE4900 6C000004
	v_mfma_f32_16x16x32_fp8_fp8 v[40:43], a[76:77], a[4:5], v[40:43]// 000000007180: D3F30028 1CA2094C
	v_mfma_f32_16x16x32_fp8_fp8 v[40:43], a[78:79], a[6:7], v[40:43]// 000000007188: D3F30028 1CA20D4E
	v_mfma_f32_16x16x32_fp8_fp8 v[40:43], a[80:81], a[8:9], v[40:43]// 000000007190: D3F30028 1CA21150
	v_mfma_f32_16x16x32_fp8_fp8 v[40:43], a[82:83], a[10:11], v[40:43]// 000000007198: D3F30028 1CA21552
	ds_read_b128 a[112:115], v4 offset:18944                   // 0000000071A0: DBFE4A00 70000004
	ds_read_b128 a[116:119], v4 offset:19200                   // 0000000071A8: DBFE4B00 74000004
	v_mfma_f32_16x16x32_fp8_fp8 v[40:43], a[84:85], a[12:13], v[40:43]// 0000000071B0: D3F30028 1CA21954
	v_mfma_f32_16x16x32_fp8_fp8 v[40:43], a[86:87], a[14:15], v[40:43]// 0000000071B8: D3F30028 1CA21D56
	s_waitcnt lgkmcnt(4)                                       // 0000000071C0: BF8CC47F
	v_mfma_f32_16x16x32_fp8_fp8 v[40:43], a[88:89], a[16:17], v[40:43]// 0000000071C4: D3F30028 1CA22158
	v_mfma_f32_16x16x32_fp8_fp8 v[40:43], a[90:91], a[18:19], v[40:43]// 0000000071CC: D3F30028 1CA2255A
	ds_read_b128 a[120:123], v4 offset:19456                   // 0000000071D4: DBFE4C00 78000004
	ds_read_b128 a[124:127], v4 offset:19712                   // 0000000071DC: DBFE4D00 7C000004
	v_mfma_f32_16x16x32_fp8_fp8 v[40:43], a[92:93], a[20:21], v[40:43]// 0000000071E4: D3F30028 1CA2295C
	v_mfma_f32_16x16x32_fp8_fp8 v[40:43], a[94:95], a[22:23], v[40:43]// 0000000071EC: D3F30028 1CA22D5E
	v_mfma_f32_16x16x32_fp8_fp8 v[40:43], a[96:97], a[24:25], v[40:43]// 0000000071F4: D3F30028 1CA23160
	v_mfma_f32_16x16x32_fp8_fp8 v[40:43], a[98:99], a[26:27], v[40:43]// 0000000071FC: D3F30028 1CA23562
	ds_read_b128 a[128:131], v4 offset:19968                   // 000000007204: DBFE4E00 80000004
	ds_read_b128 a[132:135], v4 offset:20224                   // 00000000720C: DBFE4F00 84000004
	v_mfma_f32_16x16x32_fp8_fp8 v[40:43], a[100:101], a[28:29], v[40:43]// 000000007214: D3F30028 1CA23964
	v_mfma_f32_16x16x32_fp8_fp8 v[40:43], a[102:103], a[30:31], v[40:43]// 00000000721C: D3F30028 1CA23D66
	s_waitcnt lgkmcnt(4)                                       // 000000007224: BF8CC47F
	s_barrier                                                  // 000000007228: BF8A0000
	v_mfma_f32_16x16x32_fp8_fp8 v[40:43], a[104:105], a[32:33], v[40:43]// 00000000722C: D3F30028 1CA24168
	v_mfma_f32_16x16x32_fp8_fp8 v[40:43], a[106:107], a[34:35], v[40:43]// 000000007234: D3F30028 1CA2456A
	ds_read_b128 a[136:139], v4 offset:20480                   // 00000000723C: DBFE5000 88000004
	ds_read_b128 a[140:143], v4 offset:20736                   // 000000007244: DBFE5100 8C000004
	v_mfma_f32_16x16x32_fp8_fp8 v[44:47], a[108:109], a[0:1], 0// 00000000724C: D3F3002C 1A02016C
	buffer_load_dword v18, s[20:23], 0 offen lds               // 000000007254: E0511000 80050012
	s_add_u32 m0, 0, s37                                       // 00000000725C: 807C2580
	v_mfma_f32_16x16x32_fp8_fp8 v[44:47], a[110:111], a[2:3], v[44:47]// 000000007260: D3F3002C 1CB2056E
	v_perm_b32 v32, v22, v20, s52                              // 000000007268: D1ED0020 00D22916
	v_perm_b32 v33, v22, v20, s53                              // 000000007270: D1ED0021 00D62916
	v_perm_b32 v34, v23, v21, s52                              // 000000007278: D1ED0022 00D22B17
	v_perm_b32 v35, v23, v21, s53                              // 000000007280: D1ED0023 00D62B17
	v_perm_b32 v28, v34, v32, s54                              // 000000007288: D1ED001C 00DA4122
	v_perm_b32 v36, v34, v32, s55                              // 000000007290: D1ED0024 00DE4122
	v_perm_b32 v30, v35, v33, s54                              // 000000007298: D1ED001E 00DA4323
	v_perm_b32 v38, v35, v33, s55                              // 0000000072A0: D1ED0026 00DE4323
	v_mfma_f32_16x16x32_fp8_fp8 v[44:47], a[112:113], a[4:5], v[44:47]// 0000000072A8: D3F3002C 1CB20970
	buffer_load_dword v19, s[20:23], 0 offen lds               // 0000000072B0: E0511000 80050013
	s_add_u32 m0, 0xc0, s36                                    // 0000000072B8: 807C24FF 000000C0
	v_mfma_f32_16x16x32_fp8_fp8 v[44:47], a[114:115], a[6:7], v[44:47]// 0000000072C0: D3F3002C 1CB20D72
	v_perm_b32 v32, v26, v24, s52                              // 0000000072C8: D1ED0020 00D2311A
	v_perm_b32 v33, v26, v24, s53                              // 0000000072D0: D1ED0021 00D6311A
	v_perm_b32 v34, v27, v25, s52                              // 0000000072D8: D1ED0022 00D2331B
	v_perm_b32 v35, v27, v25, s53                              // 0000000072E0: D1ED0023 00D6331B
	v_perm_b32 v29, v34, v32, s54                              // 0000000072E8: D1ED001D 00DA4122
	v_perm_b32 v37, v34, v32, s55                              // 0000000072F0: D1ED0025 00DE4122
	v_perm_b32 v31, v35, v33, s54                              // 0000000072F8: D1ED001F 00DA4323
	v_perm_b32 v39, v35, v33, s55                              // 000000007300: D1ED0027 00DE4323
	v_mfma_f32_16x16x32_fp8_fp8 v[44:47], a[116:117], a[8:9], v[44:47]// 000000007308: D3F3002C 1CB21174
	buffer_load_dword v18, s[20:23], 0 offen offset:64 lds     // 000000007310: E0511040 80050012
	s_add_u32 m0, 0xc0, s37                                    // 000000007318: 807C25FF 000000C0
	v_mfma_f32_16x16x32_fp8_fp8 v[44:47], a[118:119], a[10:11], v[44:47]// 000000007320: D3F3002C 1CB21576
	ds_write_b128 v6, v[28:31] offset:45312                    // 000000007328: D9BEB100 00001C06
	s_waitcnt lgkmcnt(1)                                       // 000000007330: BF8CC17F
	v_mfma_f32_16x16x32_fp8_fp8 v[44:47], a[120:121], a[12:13], v[44:47]// 000000007334: D3F3002C 1CB21978
	buffer_load_dword v19, s[20:23], 0 offen offset:64 lds     // 00000000733C: E0511040 80050013
	s_add_u32 m0, 0x180, s36                                   // 000000007344: 807C24FF 00000180
	v_mfma_f32_16x16x32_fp8_fp8 v[44:47], a[122:123], a[14:15], v[44:47]// 00000000734C: D3F3002C 1CB21D7A
	ds_write_b128 v6, v[36:39] offset:46336                    // 000000007354: D9BEB500 00002406
	v_mfma_f32_16x16x32_fp8_fp8 v[44:47], a[124:125], a[16:17], v[44:47]// 00000000735C: D3F3002C 1CB2217C
	buffer_load_dword v18, s[20:23], 0 offen offset:128 lds    // 000000007364: E0511080 80050012
	s_add_u32 m0, 0x180, s37                                   // 00000000736C: 807C25FF 00000180
	v_mfma_f32_16x16x32_fp8_fp8 v[44:47], a[126:127], a[18:19], v[44:47]// 000000007374: D3F3002C 1CB2257E
	v_mfma_f32_16x16x32_fp8_fp8 v[44:47], a[128:129], a[20:21], v[44:47]// 00000000737C: D3F3002C 1CB22980
	buffer_load_dword v19, s[20:23], 0 offen offset:128 lds    // 000000007384: E0511080 80050013
	s_add_u32 m0, 0x240, s36                                   // 00000000738C: 807C24FF 00000240
	v_mfma_f32_16x16x32_fp8_fp8 v[44:47], a[130:131], a[22:23], v[44:47]// 000000007394: D3F3002C 1CB22D82
	v_mfma_f32_16x16x32_fp8_fp8 v[44:47], a[132:133], a[24:25], v[44:47]// 00000000739C: D3F3002C 1CB23184
	buffer_load_dword v18, s[20:23], 0 offen offset:192 lds    // 0000000073A4: E05110C0 80050012
	s_add_u32 m0, 0x240, s37                                   // 0000000073AC: 807C25FF 00000240
	v_mfma_f32_16x16x32_fp8_fp8 v[44:47], a[134:135], a[26:27], v[44:47]// 0000000073B4: D3F3002C 1CB23586
	v_mfma_f32_16x16x32_fp8_fp8 v[44:47], a[136:137], a[28:29], v[44:47]// 0000000073BC: D3F3002C 1CB23988
	buffer_load_dword v19, s[20:23], 0 offen offset:192 lds    // 0000000073C4: E05110C0 80050013
	s_add_u32 m0, 0x300, s36                                   // 0000000073CC: 807C24FF 00000300
	v_mfma_f32_16x16x32_fp8_fp8 v[44:47], a[138:139], a[30:31], v[44:47]// 0000000073D4: D3F3002C 1CB23D8A
	v_mfma_f32_16x16x32_fp8_fp8 v[44:47], a[140:141], a[32:33], v[44:47]// 0000000073DC: D3F3002C 1CB2418C
	buffer_load_dword v18, s[20:23], 0 offen offset:256 lds    // 0000000073E4: E0511100 80050012
	s_add_u32 m0, 0x300, s37                                   // 0000000073EC: 807C25FF 00000300
	v_mfma_f32_16x16x32_fp8_fp8 v[44:47], a[142:143], a[34:35], v[44:47]// 0000000073F4: D3F3002C 1CB2458E
	v_add_u32_e32 v8, s73, v8                                  // 0000000073FC: 68101049
	s_waitcnt lgkmcnt(0)                                       // 000000007400: BF8CC07F
	s_barrier                                                  // 000000007404: BF8A0000
	v_mfma_f32_16x16x32_fp8_fp8 v[48:51], a[72:73], a[36:37], 0// 000000007408: D3F30030 1A024948
	v_mfma_f32_16x16x32_fp8_fp8 v[48:51], a[74:75], a[38:39], v[48:51]// 000000007410: D3F30030 1CC24D4A
	v_max3_f32 v24, v40, v41, v40                              // 000000007418: D1D30018 04A25328
	v_max3_f32 v24, v42, v43, v24                              // 000000007420: D1D30018 0462572A
	v_max3_f32 v24, v44, v45, v24                              // 000000007428: D1D30018 04625B2C
	v_max3_f32 v24, v46, v47, v24                              // 000000007430: D1D30018 04625F2E
	ds_write_b32 v3, v24 offset:53504                          // 000000007438: D81AD100 00001803
	v_mfma_f32_16x16x32_fp8_fp8 v[48:51], a[76:77], a[40:41], v[48:51]// 000000007440: D3F30030 1CC2514C
	buffer_load_dword v19, s[20:23], 0 offen offset:256 lds    // 000000007448: E0511100 80050013
	s_add_u32 m0, 0x3c0, s36                                   // 000000007450: 807C24FF 000003C0
	v_mfma_f32_16x16x32_fp8_fp8 v[48:51], a[78:79], a[42:43], v[48:51]// 000000007458: D3F30030 1CC2554E
	v_mfma_f32_16x16x32_fp8_fp8 v[48:51], a[80:81], a[44:45], v[48:51]// 000000007460: D3F30030 1CC25950
	buffer_load_dword v18, s[20:23], 0 offen offset:320 lds    // 000000007468: E0511140 80050012
	s_add_u32 m0, 0x3c0, s37                                   // 000000007470: 807C25FF 000003C0
	v_mfma_f32_16x16x32_fp8_fp8 v[48:51], a[82:83], a[46:47], v[48:51]// 000000007478: D3F30030 1CC25D52
	v_mfma_f32_16x16x32_fp8_fp8 v[48:51], a[84:85], a[48:49], v[48:51]// 000000007480: D3F30030 1CC26154
	s_waitcnt lgkmcnt(0)                                       // 000000007488: BF8CC07F
	ds_read_b32 v20, v2 offset:53504                           // 00000000748C: D86CD100 14000002
	ds_read_b32 v21, v2 offset:53568                           // 000000007494: D86CD140 15000002
	v_mfma_f32_16x16x32_fp8_fp8 v[48:51], a[86:87], a[50:51], v[48:51]// 00000000749C: D3F30030 1CC26556
	ds_read_b32 v22, v2 offset:53632                           // 0000000074A4: D86CD180 16000002
	ds_read_b32 v23, v2 offset:53696                           // 0000000074AC: D86CD1C0 17000002
	v_mfma_f32_16x16x32_fp8_fp8 v[48:51], a[88:89], a[52:53], v[48:51]// 0000000074B4: D3F30030 1CC26958
	buffer_load_dword v19, s[20:23], 0 offen offset:320 lds    // 0000000074BC: E0511140 80050013
	s_add_u32 m0, 0x480, s36                                   // 0000000074C4: 807C24FF 00000480
	v_mfma_f32_16x16x32_fp8_fp8 v[48:51], a[90:91], a[54:55], v[48:51]// 0000000074CC: D3F30030 1CC26D5A
	v_mfma_f32_16x16x32_fp8_fp8 v[48:51], a[92:93], a[56:57], v[48:51]// 0000000074D4: D3F30030 1CC2715C
	buffer_load_dword v18, s[20:23], 0 offen offset:384 lds    // 0000000074DC: E0511180 80050012
	s_add_u32 m0, 0x480, s37                                   // 0000000074E4: 807C25FF 00000480
	v_mfma_f32_16x16x32_fp8_fp8 v[48:51], a[94:95], a[58:59], v[48:51]// 0000000074EC: D3F30030 1CC2755E
	v_mfma_f32_16x16x32_fp8_fp8 v[48:51], a[96:97], a[60:61], v[48:51]// 0000000074F4: D3F30030 1CC27960
	buffer_load_dword v19, s[20:23], 0 offen offset:384 lds    // 0000000074FC: E0511180 80050013
	s_add_u32 m0, 0x540, s36                                   // 000000007504: 807C24FF 00000540
	v_mfma_f32_16x16x32_fp8_fp8 v[48:51], a[98:99], a[62:63], v[48:51]// 00000000750C: D3F30030 1CC27D62
	v_mfma_f32_16x16x32_fp8_fp8 v[48:51], a[100:101], a[64:65], v[48:51]// 000000007514: D3F30030 1CC28164
	s_waitcnt lgkmcnt(0)                                       // 00000000751C: BF8CC07F
	v_max3_f32 v24, v20, v21, v24                              // 000000007520: D1D30018 04622B14
	v_max3_f32 v24, v22, v23, v24                              // 000000007528: D1D30018 04622F16
	v_mfma_f32_16x16x32_fp8_fp8 v[48:51], a[102:103], a[66:67], v[48:51]// 000000007530: D3F30030 1CC28566
	v_mfma_f32_16x16x32_fp8_fp8 v[48:51], a[104:105], a[68:69], v[48:51]// 000000007538: D3F30030 1CC28968
	buffer_load_dword v18, s[20:23], 0 offen offset:448 lds    // 000000007540: E05111C0 80050012
	s_add_u32 m0, 0x540, s37                                   // 000000007548: 807C25FF 00000540
	v_mfma_f32_16x16x32_fp8_fp8 v[48:51], a[106:107], a[70:71], v[48:51]// 000000007550: D3F30030 1CC28D6A
	v_mfma_f32_16x16x32_fp8_fp8 v[52:55], a[108:109], a[36:37], 0// 000000007558: D3F30034 1A02496C
	buffer_load_dword v19, s[20:23], 0 offen offset:448 lds    // 000000007560: E05111C0 80050013
	s_add_u32 m0, 0x600, s36                                   // 000000007568: 807C24FF 00000600
	v_mfma_f32_16x16x32_fp8_fp8 v[52:55], a[110:111], a[38:39], v[52:55]// 000000007570: D3F30034 1CD24D6E
	v_mfma_f32_16x16x32_fp8_fp8 v[52:55], a[112:113], a[40:41], v[52:55]// 000000007578: D3F30034 1CD25170
	buffer_load_dword v18, s[20:23], 0 offen offset:512 lds    // 000000007580: E0511200 80050012
	s_add_u32 m0, 0x600, s37                                   // 000000007588: 807C25FF 00000600
	v_mfma_f32_16x16x32_fp8_fp8 v[52:55], a[114:115], a[42:43], v[52:55]// 000000007590: D3F30034 1CD25572
	ds_read_b128 a[72:75], v7 offset:37120                     // 000000007598: DBFE9100 48000007
	ds_read_b128 a[76:79], v7 offset:38144                     // 0000000075A0: DBFE9500 4C000007
	v_mfma_f32_16x16x32_fp8_fp8 v[52:55], a[116:117], a[44:45], v[52:55]// 0000000075A8: D3F30034 1CD25974
	v_mfma_f32_16x16x32_fp8_fp8 v[52:55], a[118:119], a[46:47], v[52:55]// 0000000075B0: D3F30034 1CD25D76
	v_mfma_f32_16x16x32_fp8_fp8 v[52:55], a[120:121], a[48:49], v[52:55]// 0000000075B8: D3F30034 1CD26178
	buffer_load_dword v19, s[20:23], 0 offen offset:512 lds    // 0000000075C0: E0511200 80050013
	s_add_u32 m0, 0x6c0, s36                                   // 0000000075C8: 807C24FF 000006C0
	v_mfma_f32_16x16x32_fp8_fp8 v[52:55], a[122:123], a[50:51], v[52:55]// 0000000075D0: D3F30034 1CD2657A
	ds_read_b128 a[80:83], v7 offset:39168                     // 0000000075D8: DBFE9900 50000007
	ds_read_b128 a[84:87], v7 offset:40192                     // 0000000075E0: DBFE9D00 54000007
	v_mfma_f32_16x16x32_fp8_fp8 v[52:55], a[124:125], a[52:53], v[52:55]// 0000000075E8: D3F30034 1CD2697C
	v_mfma_f32_16x16x32_fp8_fp8 v[52:55], a[126:127], a[54:55], v[52:55]// 0000000075F0: D3F30034 1CD26D7E
	v_mfma_f32_16x16x32_fp8_fp8 v[52:55], a[128:129], a[56:57], v[52:55]// 0000000075F8: D3F30034 1CD27180
	v_mfma_f32_16x16x32_fp8_fp8 v[52:55], a[130:131], a[58:59], v[52:55]// 000000007600: D3F30034 1CD27582
	ds_read_b128 a[88:91], v7 offset:41216                     // 000000007608: DBFEA100 58000007
	ds_read_b128 a[92:95], v7 offset:42240                     // 000000007610: DBFEA500 5C000007
	v_mfma_f32_16x16x32_fp8_fp8 v[52:55], a[132:133], a[60:61], v[52:55]// 000000007618: D3F30034 1CD27984
	v_mfma_f32_16x16x32_fp8_fp8 v[52:55], a[134:135], a[62:63], v[52:55]// 000000007620: D3F30034 1CD27D86
	v_mfma_f32_16x16x32_fp8_fp8 v[52:55], a[136:137], a[64:65], v[52:55]// 000000007628: D3F30034 1CD28188
	v_mfma_f32_16x16x32_fp8_fp8 v[52:55], a[138:139], a[66:67], v[52:55]// 000000007630: D3F30034 1CD2858A
	ds_read_b128 a[96:99], v7 offset:43264                     // 000000007638: DBFEA900 60000007
	ds_read_b128 a[100:103], v7 offset:44288                   // 000000007640: DBFEAD00 64000007
	v_mfma_f32_16x16x32_fp8_fp8 v[52:55], a[140:141], a[68:69], v[52:55]// 000000007648: D3F30034 1CD2898C
	v_mfma_f32_16x16x32_fp8_fp8 v[52:55], a[142:143], a[70:71], v[52:55]// 000000007650: D3F30034 1CD28D8E
	v_mov_b32_e32 v25, 0xff7fffff                              // 000000007658: 7E3202FF FF7FFFFF
	v_cmp_eq_u32_e64 s[38:39], v25, v12                        // 000000007660: D0CA0026 00021919
	v_max_f32_e32 v20, v24, v12                                // 000000007668: 16281918
	v_sub_f32_e32 v16, v12, v20                                // 00000000766C: 0420290C
	v_cndmask_b32_e64 v16, v16, 0, s[38:39]                    // 000000007670: D1000010 00990110
	v_mov_b32_e32 v12, v20                                     // 000000007678: 7E180314
	v_mul_f32_e32 v21, s5, v20                                 // 00000000767C: 0A2A2805
	v_mul_f32_e32 v16, s5, v16                                 // 000000007680: 0A202005
	v_exp_f32_e32 v16, v16                                     // 000000007684: 7E204110
	v_fma_f32 v40, v40, s5, -v21                               // 000000007688: D1CB0028 84540B28
	v_fma_f32 v41, v41, s5, -v21                               // 000000007690: D1CB0029 84540B29
	v_fma_f32 v42, v42, s5, -v21                               // 000000007698: D1CB002A 84540B2A
	v_fma_f32 v43, v43, s5, -v21                               // 0000000076A0: D1CB002B 84540B2B
	v_fma_f32 v44, v44, s5, -v21                               // 0000000076A8: D1CB002C 84540B2C
	v_fma_f32 v45, v45, s5, -v21                               // 0000000076B0: D1CB002D 84540B2D
	v_fma_f32 v46, v46, s5, -v21                               // 0000000076B8: D1CB002E 84540B2E
	v_fma_f32 v47, v47, s5, -v21                               // 0000000076C0: D1CB002F 84540B2F
	v_exp_f32_e32 v40, v40                                     // 0000000076C8: 7E504128
	v_exp_f32_e32 v41, v41                                     // 0000000076CC: 7E524129
	v_exp_f32_e32 v42, v42                                     // 0000000076D0: 7E54412A
	v_exp_f32_e32 v43, v43                                     // 0000000076D4: 7E56412B
	v_exp_f32_e32 v44, v44                                     // 0000000076D8: 7E58412C
	v_exp_f32_e32 v45, v45                                     // 0000000076DC: 7E5A412D
	v_exp_f32_e32 v46, v46                                     // 0000000076E0: 7E5C412E
	v_exp_f32_e32 v47, v47                                     // 0000000076E4: 7E5E412F
	v_mul_f32_e32 v14, v16, v14                                // 0000000076E8: 0A1C1D10
	v_mov_b32_e32 v22, v40                                     // 0000000076EC: 7E2C0328
	v_add_f32_e32 v22, v41, v22                                // 0000000076F0: 022C2D29
	v_add_f32_e32 v22, v42, v22                                // 0000000076F4: 022C2D2A
	v_add_f32_e32 v22, v43, v22                                // 0000000076F8: 022C2D2B
	v_add_f32_e32 v22, v44, v22                                // 0000000076FC: 022C2D2C
	v_add_f32_e32 v22, v45, v22                                // 000000007700: 022C2D2D
	v_add_f32_e32 v22, v46, v22                                // 000000007704: 022C2D2E
	v_add_f32_e32 v22, v47, v22                                // 000000007708: 022C2D2F
	v_add_f32_e32 v14, v22, v14                                // 00000000770C: 021C1D16
	v_cvt_pk_fp8_f32 v40, v40, v41                             // 000000007710: D2A20028 00025328
	v_cvt_pk_fp8_f32 v40, v42, v43 op_sel:[0,0,1]              // 000000007718: D2A24028 0002572A
	v_cvt_pk_fp8_f32 v41, v44, v45                             // 000000007720: D2A20029 00025B2C
	v_cvt_pk_fp8_f32 v41, v46, v47 op_sel:[0,0,1]              // 000000007728: D2A24029 00025F2E
	s_nop 0                                                    // 000000007730: BF800000
	v_mul_u32_u24_dpp v18, v10, v9 row_newbcast:0 row_mask:0xf bank_mask:0xf// 000000007734: 102412FA FF01500A
	v_mul_u32_u24_dpp v19, v10, v9 row_newbcast:8 row_mask:0xf bank_mask:0xf// 00000000773C: 102612FA FF01580A
	v_add_u32_e32 v18, v18, v1                                 // 000000007744: 68240312
	v_add_u32_e32 v19, v19, v1                                 // 000000007748: 68260313
	s_mov_b32 m0, s34                                          // 00000000774C: BEFC0022
	v_mov_b32_e32 v22, v16                                     // 000000007750: 7E2C0310
	v_mov_b32_e32 v23, v16                                     // 000000007754: 7E2E0310
	v_pk_mul_f32 v[56:57], v[22:23], v[56:57]                  // 000000007758: D3B14038 18027116
	v_pk_mul_f32 v[58:59], v[22:23], v[58:59]                  // 000000007760: D3B1403A 18027516
	v_pk_mul_f32 v[60:61], v[22:23], v[60:61]                  // 000000007768: D3B1403C 18027916
	v_pk_mul_f32 v[62:63], v[22:23], v[62:63]                  // 000000007770: D3B1403E 18027D16
	v_pk_mul_f32 v[64:65], v[22:23], v[64:65]                  // 000000007778: D3B14040 18028116
	v_pk_mul_f32 v[66:67], v[22:23], v[66:67]                  // 000000007780: D3B14042 18028516
	v_pk_mul_f32 v[68:69], v[22:23], v[68:69]                  // 000000007788: D3B14044 18028916
	v_pk_mul_f32 v[70:71], v[22:23], v[70:71]                  // 000000007790: D3B14046 18028D16
	v_pk_mul_f32 v[72:73], v[22:23], v[72:73]                  // 000000007798: D3B14048 18029116
	v_pk_mul_f32 v[74:75], v[22:23], v[74:75]                  // 0000000077A0: D3B1404A 18029516
	v_pk_mul_f32 v[76:77], v[22:23], v[76:77]                  // 0000000077A8: D3B1404C 18029916
	v_pk_mul_f32 v[78:79], v[22:23], v[78:79]                  // 0000000077B0: D3B1404E 18029D16
	v_pk_mul_f32 v[80:81], v[22:23], v[80:81]                  // 0000000077B8: D3B14050 1802A116
	v_pk_mul_f32 v[82:83], v[22:23], v[82:83]                  // 0000000077C0: D3B14052 1802A516
	v_pk_mul_f32 v[84:85], v[22:23], v[84:85]                  // 0000000077C8: D3B14054 1802A916
	v_pk_mul_f32 v[86:87], v[22:23], v[86:87]                  // 0000000077D0: D3B14056 1802AD16
	v_pk_mul_f32 v[88:89], v[22:23], v[88:89]                  // 0000000077D8: D3B14058 1802B116
	v_pk_mul_f32 v[90:91], v[22:23], v[90:91]                  // 0000000077E0: D3B1405A 1802B516
	v_pk_mul_f32 v[92:93], v[22:23], v[92:93]                  // 0000000077E8: D3B1405C 1802B916
	v_pk_mul_f32 v[94:95], v[22:23], v[94:95]                  // 0000000077F0: D3B1405E 1802BD16
	v_pk_mul_f32 v[96:97], v[22:23], v[96:97]                  // 0000000077F8: D3B14060 1802C116
	v_pk_mul_f32 v[98:99], v[22:23], v[98:99]                  // 000000007800: D3B14062 1802C516
	v_pk_mul_f32 v[100:101], v[22:23], v[100:101]              // 000000007808: D3B14064 1802C916
	v_pk_mul_f32 v[102:103], v[22:23], v[102:103]              // 000000007810: D3B14066 1802CD16
	v_pk_mul_f32 v[104:105], v[22:23], v[104:105]              // 000000007818: D3B14068 1802D116
	v_pk_mul_f32 v[106:107], v[22:23], v[106:107]              // 000000007820: D3B1406A 1802D516
	v_pk_mul_f32 v[108:109], v[22:23], v[108:109]              // 000000007828: D3B1406C 1802D916
	v_pk_mul_f32 v[110:111], v[22:23], v[110:111]              // 000000007830: D3B1406E 1802DD16
	v_pk_mul_f32 v[112:113], v[22:23], v[112:113]              // 000000007838: D3B14070 1802E116
	v_pk_mul_f32 v[114:115], v[22:23], v[114:115]              // 000000007840: D3B14072 1802E516
	v_pk_mul_f32 v[116:117], v[22:23], v[116:117]              // 000000007848: D3B14074 1802E916
	v_pk_mul_f32 v[118:119], v[22:23], v[118:119]              // 000000007850: D3B14076 1802ED16
	v_pk_mul_f32 v[120:121], v[22:23], v[120:121]              // 000000007858: D3B14078 1802F116
	v_pk_mul_f32 v[122:123], v[22:23], v[122:123]              // 000000007860: D3B1407A 1802F516
	v_pk_mul_f32 v[124:125], v[22:23], v[124:125]              // 000000007868: D3B1407C 1802F916
	v_pk_mul_f32 v[126:127], v[22:23], v[126:127]              // 000000007870: D3B1407E 1802FD16
	v_pk_mul_f32 v[128:129], v[22:23], v[128:129]              // 000000007878: D3B14080 18030116
	v_pk_mul_f32 v[130:131], v[22:23], v[130:131]              // 000000007880: D3B14082 18030516
	v_pk_mul_f32 v[132:133], v[22:23], v[132:133]              // 000000007888: D3B14084 18030916
	v_pk_mul_f32 v[134:135], v[22:23], v[134:135]              // 000000007890: D3B14086 18030D16
	v_pk_mul_f32 v[136:137], v[22:23], v[136:137]              // 000000007898: D3B14088 18031116
	v_pk_mul_f32 v[138:139], v[22:23], v[138:139]              // 0000000078A0: D3B1408A 18031516
	v_pk_mul_f32 v[140:141], v[22:23], v[140:141]              // 0000000078A8: D3B1408C 18031916
	v_pk_mul_f32 v[142:143], v[22:23], v[142:143]              // 0000000078B0: D3B1408E 18031D16
	v_pk_mul_f32 v[144:145], v[22:23], v[144:145]              // 0000000078B8: D3B14090 18032116
	v_pk_mul_f32 v[146:147], v[22:23], v[146:147]              // 0000000078C0: D3B14092 18032516
	v_pk_mul_f32 v[148:149], v[22:23], v[148:149]              // 0000000078C8: D3B14094 18032916
	v_pk_mul_f32 v[150:151], v[22:23], v[150:151]              // 0000000078D0: D3B14096 18032D16
	v_pk_mul_f32 v[152:153], v[22:23], v[152:153]              // 0000000078D8: D3B14098 18033116
	v_pk_mul_f32 v[154:155], v[22:23], v[154:155]              // 0000000078E0: D3B1409A 18033516
	v_accvgpr_read_b32 v20, a144                               // 0000000078E8: D3D84014 18000190
	v_accvgpr_read_b32 v21, a145                               // 0000000078F0: D3D84015 18000191
	v_pk_mul_f32 v[20:21], v[22:23], v[20:21]                  // 0000000078F8: D3B14014 18022916
	v_accvgpr_write_b32 a144, v20                              // 000000007900: D3D94090 18000114
	v_accvgpr_write_b32 a145, v21                              // 000000007908: D3D94091 18000115
	v_accvgpr_read_b32 v20, a146                               // 000000007910: D3D84014 18000192
	v_accvgpr_read_b32 v21, a147                               // 000000007918: D3D84015 18000193
	v_pk_mul_f32 v[20:21], v[22:23], v[20:21]                  // 000000007920: D3B14014 18022916
	v_accvgpr_write_b32 a146, v20                              // 000000007928: D3D94092 18000114
	v_accvgpr_write_b32 a147, v21                              // 000000007930: D3D94093 18000115
	v_accvgpr_read_b32 v20, a148                               // 000000007938: D3D84014 18000194
	v_accvgpr_read_b32 v21, a149                               // 000000007940: D3D84015 18000195
	v_pk_mul_f32 v[20:21], v[22:23], v[20:21]                  // 000000007948: D3B14014 18022916
	v_accvgpr_write_b32 a148, v20                              // 000000007950: D3D94094 18000114
	v_accvgpr_write_b32 a149, v21                              // 000000007958: D3D94095 18000115
	v_accvgpr_read_b32 v20, a150                               // 000000007960: D3D84014 18000196
	v_accvgpr_read_b32 v21, a151                               // 000000007968: D3D84015 18000197
	v_pk_mul_f32 v[20:21], v[22:23], v[20:21]                  // 000000007970: D3B14014 18022916
	v_accvgpr_write_b32 a150, v20                              // 000000007978: D3D94096 18000114
	v_accvgpr_write_b32 a151, v21                              // 000000007980: D3D94097 18000115
	v_accvgpr_read_b32 v20, a152                               // 000000007988: D3D84014 18000198
	v_accvgpr_read_b32 v21, a153                               // 000000007990: D3D84015 18000199
	v_pk_mul_f32 v[20:21], v[22:23], v[20:21]                  // 000000007998: D3B14014 18022916
	v_accvgpr_write_b32 a152, v20                              // 0000000079A0: D3D94098 18000114
	v_accvgpr_write_b32 a153, v21                              // 0000000079A8: D3D94099 18000115
	v_accvgpr_read_b32 v20, a154                               // 0000000079B0: D3D84014 1800019A
	v_accvgpr_read_b32 v21, a155                               // 0000000079B8: D3D84015 1800019B
	v_pk_mul_f32 v[20:21], v[22:23], v[20:21]                  // 0000000079C0: D3B14014 18022916
	v_accvgpr_write_b32 a154, v20                              // 0000000079C8: D3D9409A 18000114
	v_accvgpr_write_b32 a155, v21                              // 0000000079D0: D3D9409B 18000115
	v_accvgpr_read_b32 v20, a156                               // 0000000079D8: D3D84014 1800019C
	v_accvgpr_read_b32 v21, a157                               // 0000000079E0: D3D84015 1800019D
	v_pk_mul_f32 v[20:21], v[22:23], v[20:21]                  // 0000000079E8: D3B14014 18022916
	v_accvgpr_write_b32 a156, v20                              // 0000000079F0: D3D9409C 18000114
	v_accvgpr_write_b32 a157, v21                              // 0000000079F8: D3D9409D 18000115
	v_accvgpr_read_b32 v20, a158                               // 000000007A00: D3D84014 1800019E
	v_accvgpr_read_b32 v21, a159                               // 000000007A08: D3D84015 1800019F
	v_pk_mul_f32 v[20:21], v[22:23], v[20:21]                  // 000000007A10: D3B14014 18022916
	v_accvgpr_write_b32 a158, v20                              // 000000007A18: D3D9409E 18000114
	v_accvgpr_write_b32 a159, v21                              // 000000007A20: D3D9409F 18000115
	v_accvgpr_read_b32 v20, a160                               // 000000007A28: D3D84014 180001A0
	v_accvgpr_read_b32 v21, a161                               // 000000007A30: D3D84015 180001A1
	v_pk_mul_f32 v[20:21], v[22:23], v[20:21]                  // 000000007A38: D3B14014 18022916
	v_accvgpr_write_b32 a160, v20                              // 000000007A40: D3D940A0 18000114
	v_accvgpr_write_b32 a161, v21                              // 000000007A48: D3D940A1 18000115
	v_accvgpr_read_b32 v20, a162                               // 000000007A50: D3D84014 180001A2
	v_accvgpr_read_b32 v21, a163                               // 000000007A58: D3D84015 180001A3
	v_pk_mul_f32 v[20:21], v[22:23], v[20:21]                  // 000000007A60: D3B14014 18022916
	v_accvgpr_write_b32 a162, v20                              // 000000007A68: D3D940A2 18000114
	v_accvgpr_write_b32 a163, v21                              // 000000007A70: D3D940A3 18000115
	v_accvgpr_read_b32 v20, a164                               // 000000007A78: D3D84014 180001A4
	v_accvgpr_read_b32 v21, a165                               // 000000007A80: D3D84015 180001A5
	v_pk_mul_f32 v[20:21], v[22:23], v[20:21]                  // 000000007A88: D3B14014 18022916
	v_accvgpr_write_b32 a164, v20                              // 000000007A90: D3D940A4 18000114
	v_accvgpr_write_b32 a165, v21                              // 000000007A98: D3D940A5 18000115
	v_accvgpr_read_b32 v20, a166                               // 000000007AA0: D3D84014 180001A6
	v_accvgpr_read_b32 v21, a167                               // 000000007AA8: D3D84015 180001A7
	v_pk_mul_f32 v[20:21], v[22:23], v[20:21]                  // 000000007AB0: D3B14014 18022916
	v_accvgpr_write_b32 a166, v20                              // 000000007AB8: D3D940A6 18000114
	v_accvgpr_write_b32 a167, v21                              // 000000007AC0: D3D940A7 18000115
	v_accvgpr_read_b32 v20, a168                               // 000000007AC8: D3D84014 180001A8
	v_accvgpr_read_b32 v21, a169                               // 000000007AD0: D3D84015 180001A9
	v_pk_mul_f32 v[20:21], v[22:23], v[20:21]                  // 000000007AD8: D3B14014 18022916
	v_accvgpr_write_b32 a168, v20                              // 000000007AE0: D3D940A8 18000114
	v_accvgpr_write_b32 a169, v21                              // 000000007AE8: D3D940A9 18000115
	v_accvgpr_read_b32 v20, a170                               // 000000007AF0: D3D84014 180001AA
	v_accvgpr_read_b32 v21, a171                               // 000000007AF8: D3D84015 180001AB
	v_pk_mul_f32 v[20:21], v[22:23], v[20:21]                  // 000000007B00: D3B14014 18022916
	v_accvgpr_write_b32 a170, v20                              // 000000007B08: D3D940AA 18000114
	v_accvgpr_write_b32 a171, v21                              // 000000007B10: D3D940AB 18000115
	s_waitcnt lgkmcnt(0)                                       // 000000007B18: BF8CC07F
	v_mfma_f32_16x16x32_fp8_fp8 v[56:59], a[72:73], v[40:41], v[56:59]// 000000007B1C: D3F30038 0CE25148
	v_mfma_f32_16x16x32_fp8_fp8 v[60:63], a[74:75], v[40:41], v[60:63]// 000000007B24: D3F3003C 0CF2514A
	ds_read_b128 a[104:107], v7 offset:45312                   // 000000007B2C: DBFEB100 68000007
	ds_read_b128 a[108:111], v7 offset:46336                   // 000000007B34: DBFEB500 6C000007
	v_mfma_f32_16x16x32_fp8_fp8 v[64:67], a[76:77], v[40:41], v[64:67]// 000000007B3C: D3F30040 0D02514C
	v_mfma_f32_16x16x32_fp8_fp8 v[68:71], a[78:79], v[40:41], v[68:71]// 000000007B44: D3F30044 0D12514E
	v_mfma_f32_16x16x32_fp8_fp8 v[72:75], a[80:81], v[40:41], v[72:75]// 000000007B4C: D3F30048 0D225150
	v_mfma_f32_16x16x32_fp8_fp8 v[76:79], a[82:83], v[40:41], v[76:79]// 000000007B54: D3F3004C 0D325152
	ds_read_b128 a[112:115], v7 offset:47360                   // 000000007B5C: DBFEB900 70000007
	ds_read_b128 a[116:119], v7 offset:48384                   // 000000007B64: DBFEBD00 74000007
	v_mfma_f32_16x16x32_fp8_fp8 v[80:83], a[84:85], v[40:41], v[80:83]// 000000007B6C: D3F30050 0D425154
	v_mfma_f32_16x16x32_fp8_fp8 v[84:87], a[86:87], v[40:41], v[84:87]// 000000007B74: D3F30054 0D525156
	v_mfma_f32_16x16x32_fp8_fp8 v[88:91], a[88:89], v[40:41], v[88:91]// 000000007B7C: D3F30058 0D625158
	v_mfma_f32_16x16x32_fp8_fp8 v[92:95], a[90:91], v[40:41], v[92:95]// 000000007B84: D3F3005C 0D72515A
	ds_read_b128 a[120:123], v7 offset:49408                   // 000000007B8C: DBFEC100 78000007
	ds_read_b128 a[124:127], v7 offset:50432                   // 000000007B94: DBFEC500 7C000007
	v_mfma_f32_16x16x32_fp8_fp8 v[96:99], a[92:93], v[40:41], v[96:99]// 000000007B9C: D3F30060 0D82515C
	v_mfma_f32_16x16x32_fp8_fp8 v[100:103], a[94:95], v[40:41], v[100:103]// 000000007BA4: D3F30064 0D92515E
	v_mfma_f32_16x16x32_fp8_fp8 v[104:107], a[96:97], v[40:41], v[104:107]// 000000007BAC: D3F30068 0DA25160
	v_mfma_f32_16x16x32_fp8_fp8 v[108:111], a[98:99], v[40:41], v[108:111]// 000000007BB4: D3F3006C 0DB25162
	ds_read_b128 a[128:131], v7 offset:51456                   // 000000007BBC: DBFEC900 80000007
	ds_read_b128 a[132:135], v7 offset:52480                   // 000000007BC4: DBFECD00 84000007
	v_mfma_f32_16x16x32_fp8_fp8 v[112:115], a[100:101], v[40:41], v[112:115]// 000000007BCC: D3F30070 0DC25164
	v_mfma_f32_16x16x32_fp8_fp8 v[116:119], a[102:103], v[40:41], v[116:119]// 000000007BD4: D3F30074 0DD25166
	s_waitcnt lgkmcnt(4)                                       // 000000007BDC: BF8CC47F
	v_mfma_f32_16x16x32_fp8_fp8 v[120:123], a[104:105], v[40:41], v[120:123]// 000000007BE0: D3F30078 0DE25168
	v_max3_f32 v24, v48, v49, v48                              // 000000007BE8: D1D30018 04C26330
	v_max3_f32 v24, v50, v51, v24                              // 000000007BF0: D1D30018 04626732
	v_max3_f32 v24, v52, v53, v24                              // 000000007BF8: D1D30018 04626B34
	v_max3_f32 v24, v54, v55, v24                              // 000000007C00: D1D30018 04626F36
	ds_write_b32 v3, v24 offset:54528                          // 000000007C08: D81AD500 00001803
	v_mfma_f32_16x16x32_fp8_fp8 v[124:127], a[106:107], v[40:41], v[124:127]// 000000007C10: D3F3007C 0DF2516A
	v_mfma_f32_16x16x32_fp8_fp8 v[128:131], a[108:109], v[40:41], v[128:131]// 000000007C18: D3F30080 0E02516C
	v_mfma_f32_16x16x32_fp8_fp8 v[132:135], a[110:111], v[40:41], v[132:135]// 000000007C20: D3F30084 0E12516E
	v_mfma_f32_16x16x32_fp8_fp8 v[136:139], a[112:113], v[40:41], v[136:139]// 000000007C28: D3F30088 0E225170
	v_mfma_f32_16x16x32_fp8_fp8 v[140:143], a[114:115], v[40:41], v[140:143]// 000000007C30: D3F3008C 0E325172
	v_mfma_f32_16x16x32_fp8_fp8 v[144:147], a[116:117], v[40:41], v[144:147]// 000000007C38: D3F30090 0E425174
	v_mfma_f32_16x16x32_fp8_fp8 v[148:151], a[118:119], v[40:41], v[148:151]// 000000007C40: D3F30094 0E525176
	s_waitcnt lgkmcnt(0)                                       // 000000007C48: BF8CC07F
	v_mfma_f32_16x16x32_fp8_fp8 v[152:155], a[120:121], v[40:41], v[152:155]// 000000007C4C: D3F30098 0E625178
	s_waitcnt lgkmcnt(0)                                       // 000000007C54: BF8CC07F
	ds_read_b32 v20, v2 offset:54528                           // 000000007C58: D86CD500 14000002
	ds_read_b32 v21, v2 offset:54592                           // 000000007C60: D86CD540 15000002
	v_mfma_f32_16x16x32_fp8_fp8 a[144:147], a[122:123], v[40:41], a[144:147]// 000000007C68: D3F38090 0E42517A
	ds_read_b32 v22, v2 offset:54656                           // 000000007C70: D86CD580 16000002
	ds_read_b32 v23, v2 offset:54720                           // 000000007C78: D86CD5C0 17000002
	v_mfma_f32_16x16x32_fp8_fp8 a[148:151], a[124:125], v[40:41], a[148:151]// 000000007C80: D3F38094 0E52517C
	v_mfma_f32_16x16x32_fp8_fp8 a[152:155], a[126:127], v[40:41], a[152:155]// 000000007C88: D3F38098 0E62517E
	v_mfma_f32_16x16x32_fp8_fp8 a[156:159], a[128:129], v[40:41], a[156:159]// 000000007C90: D3F3809C 0E725180
	v_mfma_f32_16x16x32_fp8_fp8 a[160:163], a[130:131], v[40:41], a[160:163]// 000000007C98: D3F380A0 0E825182
	v_mfma_f32_16x16x32_fp8_fp8 a[164:167], a[132:133], v[40:41], a[164:167]// 000000007CA0: D3F380A4 0E925184
	v_mfma_f32_16x16x32_fp8_fp8 a[168:171], a[134:135], v[40:41], a[168:171]// 000000007CA8: D3F380A8 0EA25186
	s_waitcnt lgkmcnt(0)                                       // 000000007CB0: BF8CC07F
	v_max3_f32 v24, v20, v21, v24                              // 000000007CB4: D1D30018 04622B14
	v_max3_f32 v24, v22, v23, v24                              // 000000007CBC: D1D30018 04622F16
	v_mov_b32_e32 v25, 0xff7fffff                              // 000000007CC4: 7E3202FF FF7FFFFF
	v_cmp_eq_u32_e64 s[38:39], v25, v13                        // 000000007CCC: D0CA0026 00021B19
	v_max_f32_e32 v20, v24, v13                                // 000000007CD4: 16281B18
	v_sub_f32_e32 v17, v13, v20                                // 000000007CD8: 0422290D
	v_cndmask_b32_e64 v17, v17, 0, s[38:39]                    // 000000007CDC: D1000011 00990111
	v_mov_b32_e32 v13, v20                                     // 000000007CE4: 7E1A0314
	v_mul_f32_e32 v21, s5, v20                                 // 000000007CE8: 0A2A2805
	v_mul_f32_e32 v17, s5, v17                                 // 000000007CEC: 0A222205
	v_exp_f32_e32 v17, v17                                     // 000000007CF0: 7E224111
	v_fma_f32 v48, v48, s5, -v21                               // 000000007CF4: D1CB0030 84540B30
	v_fma_f32 v49, v49, s5, -v21                               // 000000007CFC: D1CB0031 84540B31
	v_fma_f32 v50, v50, s5, -v21                               // 000000007D04: D1CB0032 84540B32
	v_fma_f32 v51, v51, s5, -v21                               // 000000007D0C: D1CB0033 84540B33
	v_fma_f32 v52, v52, s5, -v21                               // 000000007D14: D1CB0034 84540B34
	v_fma_f32 v53, v53, s5, -v21                               // 000000007D1C: D1CB0035 84540B35
	v_fma_f32 v54, v54, s5, -v21                               // 000000007D24: D1CB0036 84540B36
	v_fma_f32 v55, v55, s5, -v21                               // 000000007D2C: D1CB0037 84540B37
	v_exp_f32_e32 v48, v48                                     // 000000007D34: 7E604130
	v_exp_f32_e32 v49, v49                                     // 000000007D38: 7E624131
	v_exp_f32_e32 v50, v50                                     // 000000007D3C: 7E644132
	v_exp_f32_e32 v51, v51                                     // 000000007D40: 7E664133
	v_exp_f32_e32 v52, v52                                     // 000000007D44: 7E684134
	v_exp_f32_e32 v53, v53                                     // 000000007D48: 7E6A4135
	v_exp_f32_e32 v54, v54                                     // 000000007D4C: 7E6C4136
	v_exp_f32_e32 v55, v55                                     // 000000007D50: 7E6E4137
	v_mul_f32_e32 v15, v17, v15                                // 000000007D54: 0A1E1F11
	v_mov_b32_e32 v22, v48                                     // 000000007D58: 7E2C0330
	v_add_f32_e32 v22, v49, v22                                // 000000007D5C: 022C2D31
	v_add_f32_e32 v22, v50, v22                                // 000000007D60: 022C2D32
	v_add_f32_e32 v22, v51, v22                                // 000000007D64: 022C2D33
	v_add_f32_e32 v22, v52, v22                                // 000000007D68: 022C2D34
	v_add_f32_e32 v22, v53, v22                                // 000000007D6C: 022C2D35
	v_add_f32_e32 v22, v54, v22                                // 000000007D70: 022C2D36
	v_add_f32_e32 v22, v55, v22                                // 000000007D74: 022C2D37
	v_add_f32_e32 v15, v22, v15                                // 000000007D78: 021E1F16
	v_cvt_pk_fp8_f32 v42, v48, v49                             // 000000007D7C: D2A2002A 00026330
	v_cvt_pk_fp8_f32 v42, v50, v51 op_sel:[0,0,1]              // 000000007D84: D2A2402A 00026732
	v_cvt_pk_fp8_f32 v43, v52, v53                             // 000000007D8C: D2A2002B 00026B34
	v_cvt_pk_fp8_f32 v43, v54, v55 op_sel:[0,0,1]              // 000000007D94: D2A2402B 00026F36
	s_nop 0                                                    // 000000007D9C: BF800000
	v_mov_b32_e32 v22, v17                                     // 000000007DA0: 7E2C0311
	v_mov_b32_e32 v23, v17                                     // 000000007DA4: 7E2E0311
	v_pk_mul_f32 v[156:157], v[22:23], v[156:157]              // 000000007DA8: D3B1409C 18033916
	v_pk_mul_f32 v[158:159], v[22:23], v[158:159]              // 000000007DB0: D3B1409E 18033D16
	v_pk_mul_f32 v[160:161], v[22:23], v[160:161]              // 000000007DB8: D3B140A0 18034116
	v_pk_mul_f32 v[162:163], v[22:23], v[162:163]              // 000000007DC0: D3B140A2 18034516
	v_pk_mul_f32 v[164:165], v[22:23], v[164:165]              // 000000007DC8: D3B140A4 18034916
	v_pk_mul_f32 v[166:167], v[22:23], v[166:167]              // 000000007DD0: D3B140A6 18034D16
	v_pk_mul_f32 v[168:169], v[22:23], v[168:169]              // 000000007DD8: D3B140A8 18035116
	v_pk_mul_f32 v[170:171], v[22:23], v[170:171]              // 000000007DE0: D3B140AA 18035516
	v_pk_mul_f32 v[172:173], v[22:23], v[172:173]              // 000000007DE8: D3B140AC 18035916
	v_pk_mul_f32 v[174:175], v[22:23], v[174:175]              // 000000007DF0: D3B140AE 18035D16
	v_pk_mul_f32 v[176:177], v[22:23], v[176:177]              // 000000007DF8: D3B140B0 18036116
	v_pk_mul_f32 v[178:179], v[22:23], v[178:179]              // 000000007E00: D3B140B2 18036516
	v_pk_mul_f32 v[180:181], v[22:23], v[180:181]              // 000000007E08: D3B140B4 18036916
	v_pk_mul_f32 v[182:183], v[22:23], v[182:183]              // 000000007E10: D3B140B6 18036D16
	v_pk_mul_f32 v[184:185], v[22:23], v[184:185]              // 000000007E18: D3B140B8 18037116
	v_pk_mul_f32 v[186:187], v[22:23], v[186:187]              // 000000007E20: D3B140BA 18037516
	v_pk_mul_f32 v[188:189], v[22:23], v[188:189]              // 000000007E28: D3B140BC 18037916
	v_pk_mul_f32 v[190:191], v[22:23], v[190:191]              // 000000007E30: D3B140BE 18037D16
	v_pk_mul_f32 v[192:193], v[22:23], v[192:193]              // 000000007E38: D3B140C0 18038116
	v_pk_mul_f32 v[194:195], v[22:23], v[194:195]              // 000000007E40: D3B140C2 18038516
	v_pk_mul_f32 v[196:197], v[22:23], v[196:197]              // 000000007E48: D3B140C4 18038916
	v_pk_mul_f32 v[198:199], v[22:23], v[198:199]              // 000000007E50: D3B140C6 18038D16
	v_pk_mul_f32 v[200:201], v[22:23], v[200:201]              // 000000007E58: D3B140C8 18039116
	v_pk_mul_f32 v[202:203], v[22:23], v[202:203]              // 000000007E60: D3B140CA 18039516
	v_pk_mul_f32 v[204:205], v[22:23], v[204:205]              // 000000007E68: D3B140CC 18039916
	v_pk_mul_f32 v[206:207], v[22:23], v[206:207]              // 000000007E70: D3B140CE 18039D16
	v_pk_mul_f32 v[208:209], v[22:23], v[208:209]              // 000000007E78: D3B140D0 1803A116
	v_pk_mul_f32 v[210:211], v[22:23], v[210:211]              // 000000007E80: D3B140D2 1803A516
	v_pk_mul_f32 v[212:213], v[22:23], v[212:213]              // 000000007E88: D3B140D4 1803A916
	v_pk_mul_f32 v[214:215], v[22:23], v[214:215]              // 000000007E90: D3B140D6 1803AD16
	v_pk_mul_f32 v[216:217], v[22:23], v[216:217]              // 000000007E98: D3B140D8 1803B116
	v_pk_mul_f32 v[218:219], v[22:23], v[218:219]              // 000000007EA0: D3B140DA 1803B516
	v_pk_mul_f32 v[220:221], v[22:23], v[220:221]              // 000000007EA8: D3B140DC 1803B916
	v_pk_mul_f32 v[222:223], v[22:23], v[222:223]              // 000000007EB0: D3B140DE 1803BD16
	v_pk_mul_f32 v[224:225], v[22:23], v[224:225]              // 000000007EB8: D3B140E0 1803C116
	v_pk_mul_f32 v[226:227], v[22:23], v[226:227]              // 000000007EC0: D3B140E2 1803C516
	v_pk_mul_f32 v[228:229], v[22:23], v[228:229]              // 000000007EC8: D3B140E4 1803C916
	v_pk_mul_f32 v[230:231], v[22:23], v[230:231]              // 000000007ED0: D3B140E6 1803CD16
	v_pk_mul_f32 v[232:233], v[22:23], v[232:233]              // 000000007ED8: D3B140E8 1803D116
	v_pk_mul_f32 v[234:235], v[22:23], v[234:235]              // 000000007EE0: D3B140EA 1803D516
	v_pk_mul_f32 v[236:237], v[22:23], v[236:237]              // 000000007EE8: D3B140EC 1803D916
	v_pk_mul_f32 v[238:239], v[22:23], v[238:239]              // 000000007EF0: D3B140EE 1803DD16
	v_pk_mul_f32 v[240:241], v[22:23], v[240:241]              // 000000007EF8: D3B140F0 1803E116
	v_pk_mul_f32 v[242:243], v[22:23], v[242:243]              // 000000007F00: D3B140F2 1803E516
	v_pk_mul_f32 v[244:245], v[22:23], v[244:245]              // 000000007F08: D3B140F4 1803E916
	v_pk_mul_f32 v[246:247], v[22:23], v[246:247]              // 000000007F10: D3B140F6 1803ED16
	v_pk_mul_f32 v[248:249], v[22:23], v[248:249]              // 000000007F18: D3B140F8 1803F116
	v_pk_mul_f32 v[250:251], v[22:23], v[250:251]              // 000000007F20: D3B140FA 1803F516
	v_pk_mul_f32 v[252:253], v[22:23], v[252:253]              // 000000007F28: D3B140FC 1803F916
	v_pk_mul_f32 v[254:255], v[22:23], v[254:255]              // 000000007F30: D3B140FE 1803FD16
	v_accvgpr_read_b32 v20, a172                               // 000000007F38: D3D84014 180001AC
	v_accvgpr_read_b32 v21, a173                               // 000000007F40: D3D84015 180001AD
	v_pk_mul_f32 v[20:21], v[22:23], v[20:21]                  // 000000007F48: D3B14014 18022916
	v_accvgpr_write_b32 a172, v20                              // 000000007F50: D3D940AC 18000114
	v_accvgpr_write_b32 a173, v21                              // 000000007F58: D3D940AD 18000115
	v_accvgpr_read_b32 v20, a174                               // 000000007F60: D3D84014 180001AE
	v_accvgpr_read_b32 v21, a175                               // 000000007F68: D3D84015 180001AF
	v_pk_mul_f32 v[20:21], v[22:23], v[20:21]                  // 000000007F70: D3B14014 18022916
	v_accvgpr_write_b32 a174, v20                              // 000000007F78: D3D940AE 18000114
	v_accvgpr_write_b32 a175, v21                              // 000000007F80: D3D940AF 18000115
	v_accvgpr_read_b32 v20, a176                               // 000000007F88: D3D84014 180001B0
	v_accvgpr_read_b32 v21, a177                               // 000000007F90: D3D84015 180001B1
	v_pk_mul_f32 v[20:21], v[22:23], v[20:21]                  // 000000007F98: D3B14014 18022916
	v_accvgpr_write_b32 a176, v20                              // 000000007FA0: D3D940B0 18000114
	v_accvgpr_write_b32 a177, v21                              // 000000007FA8: D3D940B1 18000115
	v_accvgpr_read_b32 v20, a178                               // 000000007FB0: D3D84014 180001B2
	v_accvgpr_read_b32 v21, a179                               // 000000007FB8: D3D84015 180001B3
	v_pk_mul_f32 v[20:21], v[22:23], v[20:21]                  // 000000007FC0: D3B14014 18022916
	v_accvgpr_write_b32 a178, v20                              // 000000007FC8: D3D940B2 18000114
	v_accvgpr_write_b32 a179, v21                              // 000000007FD0: D3D940B3 18000115
	v_accvgpr_read_b32 v20, a180                               // 000000007FD8: D3D84014 180001B4
	v_accvgpr_read_b32 v21, a181                               // 000000007FE0: D3D84015 180001B5
	v_pk_mul_f32 v[20:21], v[22:23], v[20:21]                  // 000000007FE8: D3B14014 18022916
	v_accvgpr_write_b32 a180, v20                              // 000000007FF0: D3D940B4 18000114
	v_accvgpr_write_b32 a181, v21                              // 000000007FF8: D3D940B5 18000115
	v_accvgpr_read_b32 v20, a182                               // 000000008000: D3D84014 180001B6
	v_accvgpr_read_b32 v21, a183                               // 000000008008: D3D84015 180001B7
	v_pk_mul_f32 v[20:21], v[22:23], v[20:21]                  // 000000008010: D3B14014 18022916
	v_accvgpr_write_b32 a182, v20                              // 000000008018: D3D940B6 18000114
	v_accvgpr_write_b32 a183, v21                              // 000000008020: D3D940B7 18000115
	v_accvgpr_read_b32 v20, a184                               // 000000008028: D3D84014 180001B8
	v_accvgpr_read_b32 v21, a185                               // 000000008030: D3D84015 180001B9
	v_pk_mul_f32 v[20:21], v[22:23], v[20:21]                  // 000000008038: D3B14014 18022916
	v_accvgpr_write_b32 a184, v20                              // 000000008040: D3D940B8 18000114
	v_accvgpr_write_b32 a185, v21                              // 000000008048: D3D940B9 18000115
	v_accvgpr_read_b32 v20, a186                               // 000000008050: D3D84014 180001BA
	v_accvgpr_read_b32 v21, a187                               // 000000008058: D3D84015 180001BB
	v_pk_mul_f32 v[20:21], v[22:23], v[20:21]                  // 000000008060: D3B14014 18022916
	v_accvgpr_write_b32 a186, v20                              // 000000008068: D3D940BA 18000114
	v_accvgpr_write_b32 a187, v21                              // 000000008070: D3D940BB 18000115
	v_accvgpr_read_b32 v20, a188                               // 000000008078: D3D84014 180001BC
	v_accvgpr_read_b32 v21, a189                               // 000000008080: D3D84015 180001BD
	v_pk_mul_f32 v[20:21], v[22:23], v[20:21]                  // 000000008088: D3B14014 18022916
	v_accvgpr_write_b32 a188, v20                              // 000000008090: D3D940BC 18000114
	v_accvgpr_write_b32 a189, v21                              // 000000008098: D3D940BD 18000115
	v_accvgpr_read_b32 v20, a190                               // 0000000080A0: D3D84014 180001BE
	v_accvgpr_read_b32 v21, a191                               // 0000000080A8: D3D84015 180001BF
	v_pk_mul_f32 v[20:21], v[22:23], v[20:21]                  // 0000000080B0: D3B14014 18022916
	v_accvgpr_write_b32 a190, v20                              // 0000000080B8: D3D940BE 18000114
	v_accvgpr_write_b32 a191, v21                              // 0000000080C0: D3D940BF 18000115
	v_accvgpr_read_b32 v20, a192                               // 0000000080C8: D3D84014 180001C0
	v_accvgpr_read_b32 v21, a193                               // 0000000080D0: D3D84015 180001C1
	v_pk_mul_f32 v[20:21], v[22:23], v[20:21]                  // 0000000080D8: D3B14014 18022916
	v_accvgpr_write_b32 a192, v20                              // 0000000080E0: D3D940C0 18000114
	v_accvgpr_write_b32 a193, v21                              // 0000000080E8: D3D940C1 18000115
	v_accvgpr_read_b32 v20, a194                               // 0000000080F0: D3D84014 180001C2
	v_accvgpr_read_b32 v21, a195                               // 0000000080F8: D3D84015 180001C3
	v_pk_mul_f32 v[20:21], v[22:23], v[20:21]                  // 000000008100: D3B14014 18022916
	v_accvgpr_write_b32 a194, v20                              // 000000008108: D3D940C2 18000114
	v_accvgpr_write_b32 a195, v21                              // 000000008110: D3D940C3 18000115
	v_accvgpr_read_b32 v20, a196                               // 000000008118: D3D84014 180001C4
	v_accvgpr_read_b32 v21, a197                               // 000000008120: D3D84015 180001C5
	v_pk_mul_f32 v[20:21], v[22:23], v[20:21]                  // 000000008128: D3B14014 18022916
	v_accvgpr_write_b32 a196, v20                              // 000000008130: D3D940C4 18000114
	v_accvgpr_write_b32 a197, v21                              // 000000008138: D3D940C5 18000115
	v_accvgpr_read_b32 v20, a198                               // 000000008140: D3D84014 180001C6
	v_accvgpr_read_b32 v21, a199                               // 000000008148: D3D84015 180001C7
	v_pk_mul_f32 v[20:21], v[22:23], v[20:21]                  // 000000008150: D3B14014 18022916
	v_accvgpr_write_b32 a198, v20                              // 000000008158: D3D940C6 18000114
	v_accvgpr_write_b32 a199, v21                              // 000000008160: D3D940C7 18000115
	s_waitcnt vmcnt(18) lgkmcnt(0)                             // 000000008168: BF8C4072
	s_barrier                                                  // 00000000816C: BF8A0000
	v_mfma_f32_16x16x32_fp8_fp8 v[156:159], a[72:73], v[42:43], v[156:159]// 000000008170: D3F3009C 0E725548
	ds_read_b32 v20, v5                                        // 000000008178: D86C0000 14000005
	ds_read_b32 v21, v5 offset:4640                            // 000000008180: D86C1220 15000005
	ds_read_b32 v22, v5 offset:9280                            // 000000008188: D86C2440 16000005
	ds_read_b32 v23, v5 offset:13920                           // 000000008190: D86C3660 17000005
	v_mfma_f32_16x16x32_fp8_fp8 v[160:163], a[74:75], v[42:43], v[160:163]// 000000008198: D3F300A0 0E82554A
	v_mfma_f32_16x16x32_fp8_fp8 v[164:167], a[76:77], v[42:43], v[164:167]// 0000000081A0: D3F300A4 0E92554C
	ds_read_b32 v24, v5 offset:128                             // 0000000081A8: D86C0080 18000005
	ds_read_b32 v25, v5 offset:4768                            // 0000000081B0: D86C12A0 19000005
	ds_read_b32 v26, v5 offset:9408                            // 0000000081B8: D86C24C0 1A000005
	ds_read_b32 v27, v5 offset:14048                           // 0000000081C0: D86C36E0 1B000005
	v_mfma_f32_16x16x32_fp8_fp8 v[168:171], a[78:79], v[42:43], v[168:171]// 0000000081C8: D3F300A8 0EA2554E
	v_mfma_f32_16x16x32_fp8_fp8 v[172:175], a[80:81], v[42:43], v[172:175]// 0000000081D0: D3F300AC 0EB25550
	ds_read_b128 a[72:75], v4                                  // 0000000081D8: DBFE0000 48000004
	ds_read_b128 a[76:79], v4 offset:256                       // 0000000081E0: DBFE0100 4C000004
	v_mfma_f32_16x16x32_fp8_fp8 v[176:179], a[82:83], v[42:43], v[176:179]// 0000000081E8: D3F300B0 0EC25552
	v_mfma_f32_16x16x32_fp8_fp8 v[180:183], a[84:85], v[42:43], v[180:183]// 0000000081F0: D3F300B4 0ED25554
	s_waitcnt lgkmcnt(2)                                       // 0000000081F8: BF8CC27F
	v_perm_b32 v32, v22, v20, s52                              // 0000000081FC: D1ED0020 00D22916
	v_perm_b32 v33, v22, v20, s53                              // 000000008204: D1ED0021 00D62916
	v_perm_b32 v34, v23, v21, s52                              // 00000000820C: D1ED0022 00D22B17
	v_perm_b32 v35, v23, v21, s53                              // 000000008214: D1ED0023 00D62B17
	v_perm_b32 v28, v34, v32, s54                              // 00000000821C: D1ED001C 00DA4122
	v_perm_b32 v36, v34, v32, s55                              // 000000008224: D1ED0024 00DE4122
	v_perm_b32 v30, v35, v33, s54                              // 00000000822C: D1ED001E 00DA4323
	v_perm_b32 v38, v35, v33, s55                              // 000000008234: D1ED0026 00DE4323
	v_mfma_f32_16x16x32_fp8_fp8 v[184:187], a[86:87], v[42:43], v[184:187]// 00000000823C: D3F300B8 0EE25556
	v_mfma_f32_16x16x32_fp8_fp8 v[188:191], a[88:89], v[42:43], v[188:191]// 000000008244: D3F300BC 0EF25558
	v_perm_b32 v32, v26, v24, s52                              // 00000000824C: D1ED0020 00D2311A
	v_perm_b32 v33, v26, v24, s53                              // 000000008254: D1ED0021 00D6311A
	v_perm_b32 v34, v27, v25, s52                              // 00000000825C: D1ED0022 00D2331B
	v_perm_b32 v35, v27, v25, s53                              // 000000008264: D1ED0023 00D6331B
	v_perm_b32 v29, v34, v32, s54                              // 00000000826C: D1ED001D 00DA4122
	v_perm_b32 v37, v34, v32, s55                              // 000000008274: D1ED0025 00DE4122
	v_perm_b32 v31, v35, v33, s54                              // 00000000827C: D1ED001F 00DA4323
	v_perm_b32 v39, v35, v33, s55                              // 000000008284: D1ED0027 00DE4323
	v_mfma_f32_16x16x32_fp8_fp8 v[192:195], a[90:91], v[42:43], v[192:195]// 00000000828C: D3F300C0 0F02555A
	v_mfma_f32_16x16x32_fp8_fp8 v[196:199], a[92:93], v[42:43], v[196:199]// 000000008294: D3F300C4 0F12555C
	ds_write_b128 v6, v[28:31] offset:37120                    // 00000000829C: D9BE9100 00001C06
	v_mfma_f32_16x16x32_fp8_fp8 v[200:203], a[94:95], v[42:43], v[200:203]// 0000000082A4: D3F300C8 0F22555E
	v_mfma_f32_16x16x32_fp8_fp8 v[204:207], a[96:97], v[42:43], v[204:207]// 0000000082AC: D3F300CC 0F325560
	ds_write_b128 v6, v[36:39] offset:38144                    // 0000000082B4: D9BE9500 00002406
	v_mfma_f32_16x16x32_fp8_fp8 v[208:211], a[98:99], v[42:43], v[208:211]// 0000000082BC: D3F300D0 0F425562
	v_mfma_f32_16x16x32_fp8_fp8 v[212:215], a[100:101], v[42:43], v[212:215]// 0000000082C4: D3F300D4 0F525564
	v_mfma_f32_16x16x32_fp8_fp8 v[216:219], a[102:103], v[42:43], v[216:219]// 0000000082CC: D3F300D8 0F625566
	v_mfma_f32_16x16x32_fp8_fp8 v[220:223], a[104:105], v[42:43], v[220:223]// 0000000082D4: D3F300DC 0F725568
	ds_read_b32 v20, v5 offset:1024                            // 0000000082DC: D86C0400 14000005
	ds_read_b32 v21, v5 offset:5664                            // 0000000082E4: D86C1620 15000005
	ds_read_b32 v22, v5 offset:10304                           // 0000000082EC: D86C2840 16000005
	ds_read_b32 v23, v5 offset:14944                           // 0000000082F4: D86C3A60 17000005
	v_mfma_f32_16x16x32_fp8_fp8 v[224:227], a[106:107], v[42:43], v[224:227]// 0000000082FC: D3F300E0 0F82556A
	v_mfma_f32_16x16x32_fp8_fp8 v[228:231], a[108:109], v[42:43], v[228:231]// 000000008304: D3F300E4 0F92556C
	ds_read_b32 v24, v5 offset:1152                            // 00000000830C: D86C0480 18000005
	ds_read_b32 v25, v5 offset:5792                            // 000000008314: D86C16A0 19000005
	ds_read_b32 v26, v5 offset:10432                           // 00000000831C: D86C28C0 1A000005
	ds_read_b32 v27, v5 offset:15072                           // 000000008324: D86C3AE0 1B000005
	v_mfma_f32_16x16x32_fp8_fp8 v[232:235], a[110:111], v[42:43], v[232:235]// 00000000832C: D3F300E8 0FA2556E
	v_mfma_f32_16x16x32_fp8_fp8 v[236:239], a[112:113], v[42:43], v[236:239]// 000000008334: D3F300EC 0FB25570
	ds_read_b128 a[80:83], v4 offset:512                       // 00000000833C: DBFE0200 50000004
	ds_read_b128 a[84:87], v4 offset:768                       // 000000008344: DBFE0300 54000004
	v_mfma_f32_16x16x32_fp8_fp8 v[240:243], a[114:115], v[42:43], v[240:243]// 00000000834C: D3F300F0 0FC25572
	v_mfma_f32_16x16x32_fp8_fp8 v[244:247], a[116:117], v[42:43], v[244:247]// 000000008354: D3F300F4 0FD25574
	v_mfma_f32_16x16x32_fp8_fp8 v[248:251], a[118:119], v[42:43], v[248:251]// 00000000835C: D3F300F8 0FE25576
	v_mfma_f32_16x16x32_fp8_fp8 v[252:255], a[120:121], v[42:43], v[252:255]// 000000008364: D3F300FC 0FF25578
	ds_read_b128 a[88:91], v4 offset:1024                      // 00000000836C: DBFE0400 58000004
	ds_read_b128 a[92:95], v4 offset:1280                      // 000000008374: DBFE0500 5C000004
	v_mfma_f32_16x16x32_fp8_fp8 a[172:175], a[122:123], v[42:43], a[172:175]// 00000000837C: D3F380AC 0EB2557A
	v_mfma_f32_16x16x32_fp8_fp8 a[176:179], a[124:125], v[42:43], a[176:179]// 000000008384: D3F380B0 0EC2557C
	v_mfma_f32_16x16x32_fp8_fp8 a[180:183], a[126:127], v[42:43], a[180:183]// 00000000838C: D3F380B4 0ED2557E
	v_mfma_f32_16x16x32_fp8_fp8 a[184:187], a[128:129], v[42:43], a[184:187]// 000000008394: D3F380B8 0EE25580
	ds_read_b128 a[96:99], v4 offset:1536                      // 00000000839C: DBFE0600 60000004
	ds_read_b128 a[100:103], v4 offset:1792                    // 0000000083A4: DBFE0700 64000004
	v_mfma_f32_16x16x32_fp8_fp8 a[188:191], a[130:131], v[42:43], a[188:191]// 0000000083AC: D3F380BC 0EF25582
	v_mfma_f32_16x16x32_fp8_fp8 a[192:195], a[132:133], v[42:43], a[192:195]// 0000000083B4: D3F380C0 0F025584
	v_mfma_f32_16x16x32_fp8_fp8 a[196:199], a[134:135], v[42:43], a[196:199]// 0000000083BC: D3F380C4 0F125586
	s_nop 0                                                    // 0000000083C4: BF800000
	s_addk_i32 s70, 0x1                                        // 0000000083C8: B7460001
	s_cmp_lt_i32 s70, s71                                      // 0000000083CC: BF044746
	s_cbranch_scc0 label_0EF2                                  // 0000000083D0: BF84F6BD
	s_branch label_0EF5                                        // 0000000083D4: BF82F6BF

00000000000083d8 <label_1836>:
	s_cmp_eq_i32 s48, 0                                        // 0000000083D8: BF008030
	s_cbranch_scc1 label_2113                                  // 0000000083DC: BF8508DB

00000000000083e0 <label_1838>:
	s_and_b32 s56, s71, 1                                      // 0000000083E0: 86388147
	s_cmp_eq_i32 s56, 1                                        // 0000000083E4: BF008138
	s_cbranch_scc1 label_1CA7                                  // 0000000083E8: BF85046C
	s_waitcnt lgkmcnt(4)                                       // 0000000083EC: BF8CC47F
	v_mfma_f32_16x16x32_fp8_fp8 v[40:43], a[72:73], a[0:1], 0  // 0000000083F0: D3F30028 1A020148
	ds_read_b128 a[104:107], v4 offset:2048                    // 0000000083F8: DBFE0800 68000004
	ds_read_b128 a[108:111], v4 offset:128                     // 000000008400: DBFE0080 6C000004
	v_mfma_f32_16x16x32_fp8_fp8 v[40:43], a[74:75], a[2:3], v[40:43]// 000000008408: D3F30028 1CA2054A
	v_mfma_f32_16x16x32_fp8_fp8 v[40:43], a[76:77], a[4:5], v[40:43]// 000000008410: D3F30028 1CA2094C
	v_mfma_f32_16x16x32_fp8_fp8 v[40:43], a[78:79], a[6:7], v[40:43]// 000000008418: D3F30028 1CA20D4E
	v_mfma_f32_16x16x32_fp8_fp8 v[40:43], a[80:81], a[8:9], v[40:43]// 000000008420: D3F30028 1CA21150
	ds_read_b128 a[112:115], v4 offset:384                     // 000000008428: DBFE0180 70000004
	ds_read_b128 a[116:119], v4 offset:640                     // 000000008430: DBFE0280 74000004
	v_mfma_f32_16x16x32_fp8_fp8 v[40:43], a[82:83], a[10:11], v[40:43]// 000000008438: D3F30028 1CA21552
	v_mfma_f32_16x16x32_fp8_fp8 v[40:43], a[84:85], a[12:13], v[40:43]// 000000008440: D3F30028 1CA21954
	v_mfma_f32_16x16x32_fp8_fp8 v[40:43], a[86:87], a[14:15], v[40:43]// 000000008448: D3F30028 1CA21D56
	s_waitcnt lgkmcnt(4)                                       // 000000008450: BF8CC47F
	v_mfma_f32_16x16x32_fp8_fp8 v[40:43], a[88:89], a[16:17], v[40:43]// 000000008454: D3F30028 1CA22158
	ds_read_b128 a[120:123], v4 offset:896                     // 00000000845C: DBFE0380 78000004
	ds_read_b128 a[124:127], v4 offset:1152                    // 000000008464: DBFE0480 7C000004
	v_mfma_f32_16x16x32_fp8_fp8 v[40:43], a[90:91], a[18:19], v[40:43]// 00000000846C: D3F30028 1CA2255A
	v_mfma_f32_16x16x32_fp8_fp8 v[40:43], a[92:93], a[20:21], v[40:43]// 000000008474: D3F30028 1CA2295C
	v_mfma_f32_16x16x32_fp8_fp8 v[40:43], a[94:95], a[22:23], v[40:43]// 00000000847C: D3F30028 1CA22D5E
	v_mfma_f32_16x16x32_fp8_fp8 v[40:43], a[96:97], a[24:25], v[40:43]// 000000008484: D3F30028 1CA23160
	ds_read_b128 a[128:131], v4 offset:1408                    // 00000000848C: DBFE0580 80000004
	ds_read_b128 a[132:135], v4 offset:1664                    // 000000008494: DBFE0680 84000004
	v_mfma_f32_16x16x32_fp8_fp8 v[40:43], a[98:99], a[26:27], v[40:43]// 00000000849C: D3F30028 1CA23562
	v_mfma_f32_16x16x32_fp8_fp8 v[40:43], a[100:101], a[28:29], v[40:43]// 0000000084A4: D3F30028 1CA23964
	v_mfma_f32_16x16x32_fp8_fp8 v[40:43], a[102:103], a[30:31], v[40:43]// 0000000084AC: D3F30028 1CA23D66
	s_waitcnt lgkmcnt(4)                                       // 0000000084B4: BF8CC47F
	s_barrier                                                  // 0000000084B8: BF8A0000
	v_mfma_f32_16x16x32_fp8_fp8 v[40:43], a[104:105], a[32:33], v[40:43]// 0000000084BC: D3F30028 1CA24168
	ds_read_b128 a[136:139], v4 offset:1920                    // 0000000084C4: DBFE0780 88000004
	ds_read_b128 a[140:143], v4 offset:2176                    // 0000000084CC: DBFE0880 8C000004
	v_mfma_f32_16x16x32_fp8_fp8 v[40:43], a[106:107], a[34:35], v[40:43]// 0000000084D4: D3F30028 1CA2456A
	v_mfma_f32_16x16x32_fp8_fp8 v[44:47], a[108:109], a[0:1], 0// 0000000084DC: D3F3002C 1A02016C
	v_perm_b32 v32, v22, v20, s52                              // 0000000084E4: D1ED0020 00D22916
	v_perm_b32 v33, v22, v20, s53                              // 0000000084EC: D1ED0021 00D62916
	v_perm_b32 v34, v23, v21, s52                              // 0000000084F4: D1ED0022 00D22B17
	v_perm_b32 v35, v23, v21, s53                              // 0000000084FC: D1ED0023 00D62B17
	v_perm_b32 v28, v34, v32, s54                              // 000000008504: D1ED001C 00DA4122
	v_perm_b32 v36, v34, v32, s55                              // 00000000850C: D1ED0024 00DE4122
	v_perm_b32 v30, v35, v33, s54                              // 000000008514: D1ED001E 00DA4323
	v_perm_b32 v38, v35, v33, s55                              // 00000000851C: D1ED0026 00DE4323
	v_mfma_f32_16x16x32_fp8_fp8 v[44:47], a[110:111], a[2:3], v[44:47]// 000000008524: D3F3002C 1CB2056E
	v_mfma_f32_16x16x32_fp8_fp8 v[44:47], a[112:113], a[4:5], v[44:47]// 00000000852C: D3F3002C 1CB20970
	v_perm_b32 v32, v26, v24, s52                              // 000000008534: D1ED0020 00D2311A
	v_perm_b32 v33, v26, v24, s53                              // 00000000853C: D1ED0021 00D6311A
	v_perm_b32 v34, v27, v25, s52                              // 000000008544: D1ED0022 00D2331B
	v_perm_b32 v35, v27, v25, s53                              // 00000000854C: D1ED0023 00D6331B
	v_perm_b32 v29, v34, v32, s54                              // 000000008554: D1ED001D 00DA4122
	v_perm_b32 v37, v34, v32, s55                              // 00000000855C: D1ED0025 00DE4122
	v_perm_b32 v31, v35, v33, s54                              // 000000008564: D1ED001F 00DA4323
	v_perm_b32 v39, v35, v33, s55                              // 00000000856C: D1ED0027 00DE4323
	v_mfma_f32_16x16x32_fp8_fp8 v[44:47], a[114:115], a[6:7], v[44:47]// 000000008574: D3F3002C 1CB20D72
	v_mfma_f32_16x16x32_fp8_fp8 v[44:47], a[116:117], a[8:9], v[44:47]// 00000000857C: D3F3002C 1CB21174
	ds_write_b128 v6, v[28:31] offset:45312                    // 000000008584: D9BEB100 00001C06
	v_mfma_f32_16x16x32_fp8_fp8 v[44:47], a[118:119], a[10:11], v[44:47]// 00000000858C: D3F3002C 1CB21576
	s_waitcnt lgkmcnt(1)                                       // 000000008594: BF8CC17F
	v_mfma_f32_16x16x32_fp8_fp8 v[44:47], a[120:121], a[12:13], v[44:47]// 000000008598: D3F3002C 1CB21978
	ds_write_b128 v6, v[36:39] offset:46336                    // 0000000085A0: D9BEB500 00002406
	v_mfma_f32_16x16x32_fp8_fp8 v[44:47], a[122:123], a[14:15], v[44:47]// 0000000085A8: D3F3002C 1CB21D7A
	v_mfma_f32_16x16x32_fp8_fp8 v[44:47], a[124:125], a[16:17], v[44:47]// 0000000085B0: D3F3002C 1CB2217C
	v_mfma_f32_16x16x32_fp8_fp8 v[44:47], a[126:127], a[18:19], v[44:47]// 0000000085B8: D3F3002C 1CB2257E
	v_mfma_f32_16x16x32_fp8_fp8 v[44:47], a[128:129], a[20:21], v[44:47]// 0000000085C0: D3F3002C 1CB22980
	v_mfma_f32_16x16x32_fp8_fp8 v[44:47], a[130:131], a[22:23], v[44:47]// 0000000085C8: D3F3002C 1CB22D82
	v_mfma_f32_16x16x32_fp8_fp8 v[44:47], a[132:133], a[24:25], v[44:47]// 0000000085D0: D3F3002C 1CB23184
	v_mfma_f32_16x16x32_fp8_fp8 v[44:47], a[134:135], a[26:27], v[44:47]// 0000000085D8: D3F3002C 1CB23586
	v_mfma_f32_16x16x32_fp8_fp8 v[44:47], a[136:137], a[28:29], v[44:47]// 0000000085E0: D3F3002C 1CB23988
	v_mfma_f32_16x16x32_fp8_fp8 v[44:47], a[138:139], a[30:31], v[44:47]// 0000000085E8: D3F3002C 1CB23D8A
	v_mfma_f32_16x16x32_fp8_fp8 v[44:47], a[140:141], a[32:33], v[44:47]// 0000000085F0: D3F3002C 1CB2418C
	v_mfma_f32_16x16x32_fp8_fp8 v[44:47], a[142:143], a[34:35], v[44:47]// 0000000085F8: D3F3002C 1CB2458E
	s_waitcnt lgkmcnt(0)                                       // 000000008600: BF8CC07F
	s_barrier                                                  // 000000008604: BF8A0000
	v_mov_b32_e32 v25, 0xff800000                              // 000000008608: 7E3202FF FF800000
	s_and_b32 s56, s48, 0xff                                   // 000000008610: 8638FF30 000000FF
	v_mov_b32_e32 v24, s56                                     // 000000008618: 7E300238
	v_lshrrev_b32_e32 v20, 4, v0                               // 00000000861C: 20280084
	v_mul_i32_i24_e32 v20, 4, v20                              // 000000008620: 0C282884
	v_add_u32_e32 v21, 1, v20                                  // 000000008624: 682A2881
	v_add_u32_e32 v22, 2, v20                                  // 000000008628: 682C2882
	v_add_u32_e32 v23, 3, v20                                  // 00000000862C: 682E2883
	v_cmp_lt_u32_e64 s[38:39], v20, v24                        // 000000008630: D0C90026 00023114
	v_add_u32_e32 v20, 16, v20                                 // 000000008638: 68282890
	s_nop 0                                                    // 00000000863C: BF800000
	v_cndmask_b32_e64 v40, v25, v40, s[38:39]                  // 000000008640: D1000028 009A5119
	v_cmp_lt_u32_e64 s[38:39], v21, v24                        // 000000008648: D0C90026 00023115
	v_add_u32_e32 v21, 16, v21                                 // 000000008650: 682A2A90
	s_nop 0                                                    // 000000008654: BF800000
	v_cndmask_b32_e64 v41, v25, v41, s[38:39]                  // 000000008658: D1000029 009A5319
	v_cmp_lt_u32_e64 s[38:39], v22, v24                        // 000000008660: D0C90026 00023116
	v_add_u32_e32 v22, 16, v22                                 // 000000008668: 682C2C90
	s_nop 0                                                    // 00000000866C: BF800000
	v_cndmask_b32_e64 v42, v25, v42, s[38:39]                  // 000000008670: D100002A 009A5519
	v_cmp_lt_u32_e64 s[38:39], v23, v24                        // 000000008678: D0C90026 00023117
	v_add_u32_e32 v23, 16, v23                                 // 000000008680: 682E2E90
	s_nop 0                                                    // 000000008684: BF800000
	v_cndmask_b32_e64 v43, v25, v43, s[38:39]                  // 000000008688: D100002B 009A5719
	v_cmp_lt_u32_e64 s[38:39], v20, v24                        // 000000008690: D0C90026 00023114
	v_add_u32_e32 v20, 16, v20                                 // 000000008698: 68282890
	s_nop 0                                                    // 00000000869C: BF800000
	v_cndmask_b32_e64 v44, v25, v44, s[38:39]                  // 0000000086A0: D100002C 009A5919
	v_cmp_lt_u32_e64 s[38:39], v21, v24                        // 0000000086A8: D0C90026 00023115
	v_add_u32_e32 v21, 16, v21                                 // 0000000086B0: 682A2A90
	s_nop 0                                                    // 0000000086B4: BF800000
	v_cndmask_b32_e64 v45, v25, v45, s[38:39]                  // 0000000086B8: D100002D 009A5B19
	v_cmp_lt_u32_e64 s[38:39], v22, v24                        // 0000000086C0: D0C90026 00023116
	v_add_u32_e32 v22, 16, v22                                 // 0000000086C8: 682C2C90
	s_nop 0                                                    // 0000000086CC: BF800000
	v_cndmask_b32_e64 v46, v25, v46, s[38:39]                  // 0000000086D0: D100002E 009A5D19
	v_cmp_lt_u32_e64 s[38:39], v23, v24                        // 0000000086D8: D0C90026 00023117
	v_add_u32_e32 v23, 16, v23                                 // 0000000086E0: 682E2E90
	s_nop 0                                                    // 0000000086E4: BF800000
	v_cndmask_b32_e64 v47, v25, v47, s[38:39]                  // 0000000086E8: D100002F 009A5F19
	v_mfma_f32_16x16x32_fp8_fp8 v[48:51], a[72:73], a[36:37], 0// 0000000086F0: D3F30030 1A024948
	v_mfma_f32_16x16x32_fp8_fp8 v[48:51], a[74:75], a[38:39], v[48:51]// 0000000086F8: D3F30030 1CC24D4A
	v_max3_f32 v24, v40, v41, v40                              // 000000008700: D1D30018 04A25328
	v_max3_f32 v24, v42, v43, v24                              // 000000008708: D1D30018 0462572A
	v_max3_f32 v24, v44, v45, v24                              // 000000008710: D1D30018 04625B2C
	v_max3_f32 v24, v46, v47, v24                              // 000000008718: D1D30018 04625F2E
	ds_write_b32 v3, v24 offset:53504                          // 000000008720: D81AD100 00001803
	v_mfma_f32_16x16x32_fp8_fp8 v[48:51], a[76:77], a[40:41], v[48:51]// 000000008728: D3F30030 1CC2514C
	v_mfma_f32_16x16x32_fp8_fp8 v[48:51], a[78:79], a[42:43], v[48:51]// 000000008730: D3F30030 1CC2554E
	v_mfma_f32_16x16x32_fp8_fp8 v[48:51], a[80:81], a[44:45], v[48:51]// 000000008738: D3F30030 1CC25950
	v_mfma_f32_16x16x32_fp8_fp8 v[48:51], a[82:83], a[46:47], v[48:51]// 000000008740: D3F30030 1CC25D52
	v_mfma_f32_16x16x32_fp8_fp8 v[48:51], a[84:85], a[48:49], v[48:51]// 000000008748: D3F30030 1CC26154
	s_waitcnt lgkmcnt(0)                                       // 000000008750: BF8CC07F
	ds_read_b32 v20, v2 offset:53504                           // 000000008754: D86CD100 14000002
	ds_read_b32 v21, v2 offset:53568                           // 00000000875C: D86CD140 15000002
	v_mfma_f32_16x16x32_fp8_fp8 v[48:51], a[86:87], a[50:51], v[48:51]// 000000008764: D3F30030 1CC26556
	ds_read_b32 v22, v2 offset:53632                           // 00000000876C: D86CD180 16000002
	ds_read_b32 v23, v2 offset:53696                           // 000000008774: D86CD1C0 17000002
	v_mfma_f32_16x16x32_fp8_fp8 v[48:51], a[88:89], a[52:53], v[48:51]// 00000000877C: D3F30030 1CC26958
	v_mfma_f32_16x16x32_fp8_fp8 v[48:51], a[90:91], a[54:55], v[48:51]// 000000008784: D3F30030 1CC26D5A
	v_mfma_f32_16x16x32_fp8_fp8 v[48:51], a[92:93], a[56:57], v[48:51]// 00000000878C: D3F30030 1CC2715C
	v_mfma_f32_16x16x32_fp8_fp8 v[48:51], a[94:95], a[58:59], v[48:51]// 000000008794: D3F30030 1CC2755E
	v_mfma_f32_16x16x32_fp8_fp8 v[48:51], a[96:97], a[60:61], v[48:51]// 00000000879C: D3F30030 1CC27960
	v_mfma_f32_16x16x32_fp8_fp8 v[48:51], a[98:99], a[62:63], v[48:51]// 0000000087A4: D3F30030 1CC27D62
	v_mfma_f32_16x16x32_fp8_fp8 v[48:51], a[100:101], a[64:65], v[48:51]// 0000000087AC: D3F30030 1CC28164
	s_waitcnt lgkmcnt(0)                                       // 0000000087B4: BF8CC07F
	v_max3_f32 v24, v20, v21, v24                              // 0000000087B8: D1D30018 04622B14
	v_max3_f32 v24, v22, v23, v24                              // 0000000087C0: D1D30018 04622F16
	v_mfma_f32_16x16x32_fp8_fp8 v[48:51], a[102:103], a[66:67], v[48:51]// 0000000087C8: D3F30030 1CC28566
	v_mfma_f32_16x16x32_fp8_fp8 v[48:51], a[104:105], a[68:69], v[48:51]// 0000000087D0: D3F30030 1CC28968
	v_mfma_f32_16x16x32_fp8_fp8 v[48:51], a[106:107], a[70:71], v[48:51]// 0000000087D8: D3F30030 1CC28D6A
	v_mfma_f32_16x16x32_fp8_fp8 v[52:55], a[108:109], a[36:37], 0// 0000000087E0: D3F30034 1A02496C
	v_mfma_f32_16x16x32_fp8_fp8 v[52:55], a[110:111], a[38:39], v[52:55]// 0000000087E8: D3F30034 1CD24D6E
	v_mfma_f32_16x16x32_fp8_fp8 v[52:55], a[112:113], a[40:41], v[52:55]// 0000000087F0: D3F30034 1CD25170
	ds_read_b128 a[72:75], v7 offset:37120                     // 0000000087F8: DBFE9100 48000007
	ds_read_b128 a[76:79], v7 offset:38144                     // 000000008800: DBFE9500 4C000007
	v_mfma_f32_16x16x32_fp8_fp8 v[52:55], a[114:115], a[42:43], v[52:55]// 000000008808: D3F30034 1CD25572
	v_mfma_f32_16x16x32_fp8_fp8 v[52:55], a[116:117], a[44:45], v[52:55]// 000000008810: D3F30034 1CD25974
	v_mfma_f32_16x16x32_fp8_fp8 v[52:55], a[118:119], a[46:47], v[52:55]// 000000008818: D3F30034 1CD25D76
	v_mfma_f32_16x16x32_fp8_fp8 v[52:55], a[120:121], a[48:49], v[52:55]// 000000008820: D3F30034 1CD26178
	ds_read_b128 a[80:83], v7 offset:39168                     // 000000008828: DBFE9900 50000007
	ds_read_b128 a[84:87], v7 offset:40192                     // 000000008830: DBFE9D00 54000007
	v_mfma_f32_16x16x32_fp8_fp8 v[52:55], a[122:123], a[50:51], v[52:55]// 000000008838: D3F30034 1CD2657A
	v_mfma_f32_16x16x32_fp8_fp8 v[52:55], a[124:125], a[52:53], v[52:55]// 000000008840: D3F30034 1CD2697C
	v_mfma_f32_16x16x32_fp8_fp8 v[52:55], a[126:127], a[54:55], v[52:55]// 000000008848: D3F30034 1CD26D7E
	v_mfma_f32_16x16x32_fp8_fp8 v[52:55], a[128:129], a[56:57], v[52:55]// 000000008850: D3F30034 1CD27180
	ds_read_b128 a[88:91], v7 offset:41216                     // 000000008858: DBFEA100 58000007
	ds_read_b128 a[92:95], v7 offset:42240                     // 000000008860: DBFEA500 5C000007
	v_mfma_f32_16x16x32_fp8_fp8 v[52:55], a[130:131], a[58:59], v[52:55]// 000000008868: D3F30034 1CD27582
	v_mfma_f32_16x16x32_fp8_fp8 v[52:55], a[132:133], a[60:61], v[52:55]// 000000008870: D3F30034 1CD27984
	v_mfma_f32_16x16x32_fp8_fp8 v[52:55], a[134:135], a[62:63], v[52:55]// 000000008878: D3F30034 1CD27D86
	v_mfma_f32_16x16x32_fp8_fp8 v[52:55], a[136:137], a[64:65], v[52:55]// 000000008880: D3F30034 1CD28188
	ds_read_b128 a[96:99], v7 offset:43264                     // 000000008888: DBFEA900 60000007
	ds_read_b128 a[100:103], v7 offset:44288                   // 000000008890: DBFEAD00 64000007
	v_mfma_f32_16x16x32_fp8_fp8 v[52:55], a[138:139], a[66:67], v[52:55]// 000000008898: D3F30034 1CD2858A
	v_mfma_f32_16x16x32_fp8_fp8 v[52:55], a[140:141], a[68:69], v[52:55]// 0000000088A0: D3F30034 1CD2898C
	v_mfma_f32_16x16x32_fp8_fp8 v[52:55], a[142:143], a[70:71], v[52:55]// 0000000088A8: D3F30034 1CD28D8E
	v_mov_b32_e32 v25, 0xff7fffff                              // 0000000088B0: 7E3202FF FF7FFFFF
	v_cmp_eq_u32_e64 s[38:39], v25, v12                        // 0000000088B8: D0CA0026 00021919
	v_max_f32_e32 v20, v24, v12                                // 0000000088C0: 16281918
	v_sub_f32_e32 v16, v12, v20                                // 0000000088C4: 0420290C
	v_cndmask_b32_e64 v16, v16, 0, s[38:39]                    // 0000000088C8: D1000010 00990110
	v_mov_b32_e32 v12, v20                                     // 0000000088D0: 7E180314
	v_mul_f32_e32 v21, s5, v20                                 // 0000000088D4: 0A2A2805
	v_mul_f32_e32 v16, s5, v16                                 // 0000000088D8: 0A202005
	v_exp_f32_e32 v16, v16                                     // 0000000088DC: 7E204110
	v_fma_f32 v40, v40, s5, -v21                               // 0000000088E0: D1CB0028 84540B28
	v_fma_f32 v41, v41, s5, -v21                               // 0000000088E8: D1CB0029 84540B29
	v_fma_f32 v42, v42, s5, -v21                               // 0000000088F0: D1CB002A 84540B2A
	v_fma_f32 v43, v43, s5, -v21                               // 0000000088F8: D1CB002B 84540B2B
	v_fma_f32 v44, v44, s5, -v21                               // 000000008900: D1CB002C 84540B2C
	v_fma_f32 v45, v45, s5, -v21                               // 000000008908: D1CB002D 84540B2D
	v_fma_f32 v46, v46, s5, -v21                               // 000000008910: D1CB002E 84540B2E
	v_fma_f32 v47, v47, s5, -v21                               // 000000008918: D1CB002F 84540B2F
	v_exp_f32_e32 v40, v40                                     // 000000008920: 7E504128
	v_exp_f32_e32 v41, v41                                     // 000000008924: 7E524129
	v_exp_f32_e32 v42, v42                                     // 000000008928: 7E54412A
	v_exp_f32_e32 v43, v43                                     // 00000000892C: 7E56412B
	v_exp_f32_e32 v44, v44                                     // 000000008930: 7E58412C
	v_exp_f32_e32 v45, v45                                     // 000000008934: 7E5A412D
	v_exp_f32_e32 v46, v46                                     // 000000008938: 7E5C412E
	v_exp_f32_e32 v47, v47                                     // 00000000893C: 7E5E412F
	v_mul_f32_e32 v14, v16, v14                                // 000000008940: 0A1C1D10
	v_mov_b32_e32 v22, v40                                     // 000000008944: 7E2C0328
	v_add_f32_e32 v22, v41, v22                                // 000000008948: 022C2D29
	v_add_f32_e32 v22, v42, v22                                // 00000000894C: 022C2D2A
	v_add_f32_e32 v22, v43, v22                                // 000000008950: 022C2D2B
	v_add_f32_e32 v22, v44, v22                                // 000000008954: 022C2D2C
	v_add_f32_e32 v22, v45, v22                                // 000000008958: 022C2D2D
	v_add_f32_e32 v22, v46, v22                                // 00000000895C: 022C2D2E
	v_add_f32_e32 v22, v47, v22                                // 000000008960: 022C2D2F
	v_add_f32_e32 v14, v22, v14                                // 000000008964: 021C1D16
	v_cvt_pk_fp8_f32 v40, v40, v41                             // 000000008968: D2A20028 00025328
	v_cvt_pk_fp8_f32 v40, v42, v43 op_sel:[0,0,1]              // 000000008970: D2A24028 0002572A
	v_cvt_pk_fp8_f32 v41, v44, v45                             // 000000008978: D2A20029 00025B2C
	v_cvt_pk_fp8_f32 v41, v46, v47 op_sel:[0,0,1]              // 000000008980: D2A24029 00025F2E
	s_nop 0                                                    // 000000008988: BF800000
	v_mov_b32_e32 v22, v16                                     // 00000000898C: 7E2C0310
	v_mov_b32_e32 v23, v16                                     // 000000008990: 7E2E0310
	v_pk_mul_f32 v[56:57], v[22:23], v[56:57]                  // 000000008994: D3B14038 18027116
	v_pk_mul_f32 v[58:59], v[22:23], v[58:59]                  // 00000000899C: D3B1403A 18027516
	v_pk_mul_f32 v[60:61], v[22:23], v[60:61]                  // 0000000089A4: D3B1403C 18027916
	v_pk_mul_f32 v[62:63], v[22:23], v[62:63]                  // 0000000089AC: D3B1403E 18027D16
	v_pk_mul_f32 v[64:65], v[22:23], v[64:65]                  // 0000000089B4: D3B14040 18028116
	v_pk_mul_f32 v[66:67], v[22:23], v[66:67]                  // 0000000089BC: D3B14042 18028516
	v_pk_mul_f32 v[68:69], v[22:23], v[68:69]                  // 0000000089C4: D3B14044 18028916
	v_pk_mul_f32 v[70:71], v[22:23], v[70:71]                  // 0000000089CC: D3B14046 18028D16
	v_pk_mul_f32 v[72:73], v[22:23], v[72:73]                  // 0000000089D4: D3B14048 18029116
	v_pk_mul_f32 v[74:75], v[22:23], v[74:75]                  // 0000000089DC: D3B1404A 18029516
	v_pk_mul_f32 v[76:77], v[22:23], v[76:77]                  // 0000000089E4: D3B1404C 18029916
	v_pk_mul_f32 v[78:79], v[22:23], v[78:79]                  // 0000000089EC: D3B1404E 18029D16
	v_pk_mul_f32 v[80:81], v[22:23], v[80:81]                  // 0000000089F4: D3B14050 1802A116
	v_pk_mul_f32 v[82:83], v[22:23], v[82:83]                  // 0000000089FC: D3B14052 1802A516
	v_pk_mul_f32 v[84:85], v[22:23], v[84:85]                  // 000000008A04: D3B14054 1802A916
	v_pk_mul_f32 v[86:87], v[22:23], v[86:87]                  // 000000008A0C: D3B14056 1802AD16
	v_pk_mul_f32 v[88:89], v[22:23], v[88:89]                  // 000000008A14: D3B14058 1802B116
	v_pk_mul_f32 v[90:91], v[22:23], v[90:91]                  // 000000008A1C: D3B1405A 1802B516
	v_pk_mul_f32 v[92:93], v[22:23], v[92:93]                  // 000000008A24: D3B1405C 1802B916
	v_pk_mul_f32 v[94:95], v[22:23], v[94:95]                  // 000000008A2C: D3B1405E 1802BD16
	v_pk_mul_f32 v[96:97], v[22:23], v[96:97]                  // 000000008A34: D3B14060 1802C116
	v_pk_mul_f32 v[98:99], v[22:23], v[98:99]                  // 000000008A3C: D3B14062 1802C516
	v_pk_mul_f32 v[100:101], v[22:23], v[100:101]              // 000000008A44: D3B14064 1802C916
	v_pk_mul_f32 v[102:103], v[22:23], v[102:103]              // 000000008A4C: D3B14066 1802CD16
	v_pk_mul_f32 v[104:105], v[22:23], v[104:105]              // 000000008A54: D3B14068 1802D116
	v_pk_mul_f32 v[106:107], v[22:23], v[106:107]              // 000000008A5C: D3B1406A 1802D516
	v_pk_mul_f32 v[108:109], v[22:23], v[108:109]              // 000000008A64: D3B1406C 1802D916
	v_pk_mul_f32 v[110:111], v[22:23], v[110:111]              // 000000008A6C: D3B1406E 1802DD16
	v_pk_mul_f32 v[112:113], v[22:23], v[112:113]              // 000000008A74: D3B14070 1802E116
	v_pk_mul_f32 v[114:115], v[22:23], v[114:115]              // 000000008A7C: D3B14072 1802E516
	v_pk_mul_f32 v[116:117], v[22:23], v[116:117]              // 000000008A84: D3B14074 1802E916
	v_pk_mul_f32 v[118:119], v[22:23], v[118:119]              // 000000008A8C: D3B14076 1802ED16
	v_pk_mul_f32 v[120:121], v[22:23], v[120:121]              // 000000008A94: D3B14078 1802F116
	v_pk_mul_f32 v[122:123], v[22:23], v[122:123]              // 000000008A9C: D3B1407A 1802F516
	v_pk_mul_f32 v[124:125], v[22:23], v[124:125]              // 000000008AA4: D3B1407C 1802F916
	v_pk_mul_f32 v[126:127], v[22:23], v[126:127]              // 000000008AAC: D3B1407E 1802FD16
	v_pk_mul_f32 v[128:129], v[22:23], v[128:129]              // 000000008AB4: D3B14080 18030116
	v_pk_mul_f32 v[130:131], v[22:23], v[130:131]              // 000000008ABC: D3B14082 18030516
	v_pk_mul_f32 v[132:133], v[22:23], v[132:133]              // 000000008AC4: D3B14084 18030916
	v_pk_mul_f32 v[134:135], v[22:23], v[134:135]              // 000000008ACC: D3B14086 18030D16
	v_pk_mul_f32 v[136:137], v[22:23], v[136:137]              // 000000008AD4: D3B14088 18031116
	v_pk_mul_f32 v[138:139], v[22:23], v[138:139]              // 000000008ADC: D3B1408A 18031516
	v_pk_mul_f32 v[140:141], v[22:23], v[140:141]              // 000000008AE4: D3B1408C 18031916
	v_pk_mul_f32 v[142:143], v[22:23], v[142:143]              // 000000008AEC: D3B1408E 18031D16
	v_pk_mul_f32 v[144:145], v[22:23], v[144:145]              // 000000008AF4: D3B14090 18032116
	v_pk_mul_f32 v[146:147], v[22:23], v[146:147]              // 000000008AFC: D3B14092 18032516
	v_pk_mul_f32 v[148:149], v[22:23], v[148:149]              // 000000008B04: D3B14094 18032916
	v_pk_mul_f32 v[150:151], v[22:23], v[150:151]              // 000000008B0C: D3B14096 18032D16
	v_pk_mul_f32 v[152:153], v[22:23], v[152:153]              // 000000008B14: D3B14098 18033116
	v_pk_mul_f32 v[154:155], v[22:23], v[154:155]              // 000000008B1C: D3B1409A 18033516
	v_accvgpr_read_b32 v20, a144                               // 000000008B24: D3D84014 18000190
	v_accvgpr_read_b32 v21, a145                               // 000000008B2C: D3D84015 18000191
	v_pk_mul_f32 v[20:21], v[22:23], v[20:21]                  // 000000008B34: D3B14014 18022916
	v_accvgpr_write_b32 a144, v20                              // 000000008B3C: D3D94090 18000114
	v_accvgpr_write_b32 a145, v21                              // 000000008B44: D3D94091 18000115
	v_accvgpr_read_b32 v20, a146                               // 000000008B4C: D3D84014 18000192
	v_accvgpr_read_b32 v21, a147                               // 000000008B54: D3D84015 18000193
	v_pk_mul_f32 v[20:21], v[22:23], v[20:21]                  // 000000008B5C: D3B14014 18022916
	v_accvgpr_write_b32 a146, v20                              // 000000008B64: D3D94092 18000114
	v_accvgpr_write_b32 a147, v21                              // 000000008B6C: D3D94093 18000115
	v_accvgpr_read_b32 v20, a148                               // 000000008B74: D3D84014 18000194
	v_accvgpr_read_b32 v21, a149                               // 000000008B7C: D3D84015 18000195
	v_pk_mul_f32 v[20:21], v[22:23], v[20:21]                  // 000000008B84: D3B14014 18022916
	v_accvgpr_write_b32 a148, v20                              // 000000008B8C: D3D94094 18000114
	v_accvgpr_write_b32 a149, v21                              // 000000008B94: D3D94095 18000115
	v_accvgpr_read_b32 v20, a150                               // 000000008B9C: D3D84014 18000196
	v_accvgpr_read_b32 v21, a151                               // 000000008BA4: D3D84015 18000197
	v_pk_mul_f32 v[20:21], v[22:23], v[20:21]                  // 000000008BAC: D3B14014 18022916
	v_accvgpr_write_b32 a150, v20                              // 000000008BB4: D3D94096 18000114
	v_accvgpr_write_b32 a151, v21                              // 000000008BBC: D3D94097 18000115
	v_accvgpr_read_b32 v20, a152                               // 000000008BC4: D3D84014 18000198
	v_accvgpr_read_b32 v21, a153                               // 000000008BCC: D3D84015 18000199
	v_pk_mul_f32 v[20:21], v[22:23], v[20:21]                  // 000000008BD4: D3B14014 18022916
	v_accvgpr_write_b32 a152, v20                              // 000000008BDC: D3D94098 18000114
	v_accvgpr_write_b32 a153, v21                              // 000000008BE4: D3D94099 18000115
	v_accvgpr_read_b32 v20, a154                               // 000000008BEC: D3D84014 1800019A
	v_accvgpr_read_b32 v21, a155                               // 000000008BF4: D3D84015 1800019B
	v_pk_mul_f32 v[20:21], v[22:23], v[20:21]                  // 000000008BFC: D3B14014 18022916
	v_accvgpr_write_b32 a154, v20                              // 000000008C04: D3D9409A 18000114
	v_accvgpr_write_b32 a155, v21                              // 000000008C0C: D3D9409B 18000115
	v_accvgpr_read_b32 v20, a156                               // 000000008C14: D3D84014 1800019C
	v_accvgpr_read_b32 v21, a157                               // 000000008C1C: D3D84015 1800019D
	v_pk_mul_f32 v[20:21], v[22:23], v[20:21]                  // 000000008C24: D3B14014 18022916
	v_accvgpr_write_b32 a156, v20                              // 000000008C2C: D3D9409C 18000114
	v_accvgpr_write_b32 a157, v21                              // 000000008C34: D3D9409D 18000115
	v_accvgpr_read_b32 v20, a158                               // 000000008C3C: D3D84014 1800019E
	v_accvgpr_read_b32 v21, a159                               // 000000008C44: D3D84015 1800019F
	v_pk_mul_f32 v[20:21], v[22:23], v[20:21]                  // 000000008C4C: D3B14014 18022916
	v_accvgpr_write_b32 a158, v20                              // 000000008C54: D3D9409E 18000114
	v_accvgpr_write_b32 a159, v21                              // 000000008C5C: D3D9409F 18000115
	v_accvgpr_read_b32 v20, a160                               // 000000008C64: D3D84014 180001A0
	v_accvgpr_read_b32 v21, a161                               // 000000008C6C: D3D84015 180001A1
	v_pk_mul_f32 v[20:21], v[22:23], v[20:21]                  // 000000008C74: D3B14014 18022916
	v_accvgpr_write_b32 a160, v20                              // 000000008C7C: D3D940A0 18000114
	v_accvgpr_write_b32 a161, v21                              // 000000008C84: D3D940A1 18000115
	v_accvgpr_read_b32 v20, a162                               // 000000008C8C: D3D84014 180001A2
	v_accvgpr_read_b32 v21, a163                               // 000000008C94: D3D84015 180001A3
	v_pk_mul_f32 v[20:21], v[22:23], v[20:21]                  // 000000008C9C: D3B14014 18022916
	v_accvgpr_write_b32 a162, v20                              // 000000008CA4: D3D940A2 18000114
	v_accvgpr_write_b32 a163, v21                              // 000000008CAC: D3D940A3 18000115
	v_accvgpr_read_b32 v20, a164                               // 000000008CB4: D3D84014 180001A4
	v_accvgpr_read_b32 v21, a165                               // 000000008CBC: D3D84015 180001A5
	v_pk_mul_f32 v[20:21], v[22:23], v[20:21]                  // 000000008CC4: D3B14014 18022916
	v_accvgpr_write_b32 a164, v20                              // 000000008CCC: D3D940A4 18000114
	v_accvgpr_write_b32 a165, v21                              // 000000008CD4: D3D940A5 18000115
	v_accvgpr_read_b32 v20, a166                               // 000000008CDC: D3D84014 180001A6
	v_accvgpr_read_b32 v21, a167                               // 000000008CE4: D3D84015 180001A7
	v_pk_mul_f32 v[20:21], v[22:23], v[20:21]                  // 000000008CEC: D3B14014 18022916
	v_accvgpr_write_b32 a166, v20                              // 000000008CF4: D3D940A6 18000114
	v_accvgpr_write_b32 a167, v21                              // 000000008CFC: D3D940A7 18000115
	v_accvgpr_read_b32 v20, a168                               // 000000008D04: D3D84014 180001A8
	v_accvgpr_read_b32 v21, a169                               // 000000008D0C: D3D84015 180001A9
	v_pk_mul_f32 v[20:21], v[22:23], v[20:21]                  // 000000008D14: D3B14014 18022916
	v_accvgpr_write_b32 a168, v20                              // 000000008D1C: D3D940A8 18000114
	v_accvgpr_write_b32 a169, v21                              // 000000008D24: D3D940A9 18000115
	v_accvgpr_read_b32 v20, a170                               // 000000008D2C: D3D84014 180001AA
	v_accvgpr_read_b32 v21, a171                               // 000000008D34: D3D84015 180001AB
	v_pk_mul_f32 v[20:21], v[22:23], v[20:21]                  // 000000008D3C: D3B14014 18022916
	v_accvgpr_write_b32 a170, v20                              // 000000008D44: D3D940AA 18000114
	v_accvgpr_write_b32 a171, v21                              // 000000008D4C: D3D940AB 18000115
	s_waitcnt lgkmcnt(0)                                       // 000000008D54: BF8CC07F
	v_mov_b32_e32 v25, 0xff800000                              // 000000008D58: 7E3202FF FF800000
	s_and_b32 s56, s48, 0xff                                   // 000000008D60: 8638FF30 000000FF
	v_mov_b32_e32 v24, s56                                     // 000000008D68: 7E300238
	v_lshrrev_b32_e32 v20, 4, v0                               // 000000008D6C: 20280084
	v_mul_i32_i24_e32 v20, 4, v20                              // 000000008D70: 0C282884
	v_add_u32_e32 v21, 1, v20                                  // 000000008D74: 682A2881
	v_add_u32_e32 v22, 2, v20                                  // 000000008D78: 682C2882
	v_add_u32_e32 v23, 3, v20                                  // 000000008D7C: 682E2883
	v_cmp_lt_u32_e64 s[38:39], v20, v24                        // 000000008D80: D0C90026 00023114
	v_add_u32_e32 v20, 16, v20                                 // 000000008D88: 68282890
	s_nop 0                                                    // 000000008D8C: BF800000
	v_cndmask_b32_e64 v48, v25, v48, s[38:39]                  // 000000008D90: D1000030 009A6119
	v_cmp_lt_u32_e64 s[38:39], v21, v24                        // 000000008D98: D0C90026 00023115
	v_add_u32_e32 v21, 16, v21                                 // 000000008DA0: 682A2A90
	s_nop 0                                                    // 000000008DA4: BF800000
	v_cndmask_b32_e64 v49, v25, v49, s[38:39]                  // 000000008DA8: D1000031 009A6319
	v_cmp_lt_u32_e64 s[38:39], v22, v24                        // 000000008DB0: D0C90026 00023116
	v_add_u32_e32 v22, 16, v22                                 // 000000008DB8: 682C2C90
	s_nop 0                                                    // 000000008DBC: BF800000
	v_cndmask_b32_e64 v50, v25, v50, s[38:39]                  // 000000008DC0: D1000032 009A6519
	v_cmp_lt_u32_e64 s[38:39], v23, v24                        // 000000008DC8: D0C90026 00023117
	v_add_u32_e32 v23, 16, v23                                 // 000000008DD0: 682E2E90
	s_nop 0                                                    // 000000008DD4: BF800000
	v_cndmask_b32_e64 v51, v25, v51, s[38:39]                  // 000000008DD8: D1000033 009A6719
	v_cmp_lt_u32_e64 s[38:39], v20, v24                        // 000000008DE0: D0C90026 00023114
	v_add_u32_e32 v20, 16, v20                                 // 000000008DE8: 68282890
	s_nop 0                                                    // 000000008DEC: BF800000
	v_cndmask_b32_e64 v52, v25, v52, s[38:39]                  // 000000008DF0: D1000034 009A6919
	v_cmp_lt_u32_e64 s[38:39], v21, v24                        // 000000008DF8: D0C90026 00023115
	v_add_u32_e32 v21, 16, v21                                 // 000000008E00: 682A2A90
	s_nop 0                                                    // 000000008E04: BF800000
	v_cndmask_b32_e64 v53, v25, v53, s[38:39]                  // 000000008E08: D1000035 009A6B19
	v_cmp_lt_u32_e64 s[38:39], v22, v24                        // 000000008E10: D0C90026 00023116
	v_add_u32_e32 v22, 16, v22                                 // 000000008E18: 682C2C90
	s_nop 0                                                    // 000000008E1C: BF800000
	v_cndmask_b32_e64 v54, v25, v54, s[38:39]                  // 000000008E20: D1000036 009A6D19
	v_cmp_lt_u32_e64 s[38:39], v23, v24                        // 000000008E28: D0C90026 00023117
	v_add_u32_e32 v23, 16, v23                                 // 000000008E30: 682E2E90
	s_nop 0                                                    // 000000008E34: BF800000
	v_cndmask_b32_e64 v55, v25, v55, s[38:39]                  // 000000008E38: D1000037 009A6F19
	v_mfma_f32_16x16x32_fp8_fp8 v[56:59], a[72:73], v[40:41], v[56:59]// 000000008E40: D3F30038 0CE25148
	ds_read_b128 a[104:107], v7 offset:45312                   // 000000008E48: DBFEB100 68000007
	ds_read_b128 a[108:111], v7 offset:46336                   // 000000008E50: DBFEB500 6C000007
	v_mfma_f32_16x16x32_fp8_fp8 v[60:63], a[74:75], v[40:41], v[60:63]// 000000008E58: D3F3003C 0CF2514A
	v_mfma_f32_16x16x32_fp8_fp8 v[64:67], a[76:77], v[40:41], v[64:67]// 000000008E60: D3F30040 0D02514C
	v_mfma_f32_16x16x32_fp8_fp8 v[68:71], a[78:79], v[40:41], v[68:71]// 000000008E68: D3F30044 0D12514E
	v_mfma_f32_16x16x32_fp8_fp8 v[72:75], a[80:81], v[40:41], v[72:75]// 000000008E70: D3F30048 0D225150
	ds_read_b128 a[112:115], v7 offset:47360                   // 000000008E78: DBFEB900 70000007
	ds_read_b128 a[116:119], v7 offset:48384                   // 000000008E80: DBFEBD00 74000007
	v_mfma_f32_16x16x32_fp8_fp8 v[76:79], a[82:83], v[40:41], v[76:79]// 000000008E88: D3F3004C 0D325152
	v_mfma_f32_16x16x32_fp8_fp8 v[80:83], a[84:85], v[40:41], v[80:83]// 000000008E90: D3F30050 0D425154
	v_mfma_f32_16x16x32_fp8_fp8 v[84:87], a[86:87], v[40:41], v[84:87]// 000000008E98: D3F30054 0D525156
	v_mfma_f32_16x16x32_fp8_fp8 v[88:91], a[88:89], v[40:41], v[88:91]// 000000008EA0: D3F30058 0D625158
	ds_read_b128 a[120:123], v7 offset:49408                   // 000000008EA8: DBFEC100 78000007
	ds_read_b128 a[124:127], v7 offset:50432                   // 000000008EB0: DBFEC500 7C000007
	v_mfma_f32_16x16x32_fp8_fp8 v[92:95], a[90:91], v[40:41], v[92:95]// 000000008EB8: D3F3005C 0D72515A
	v_mfma_f32_16x16x32_fp8_fp8 v[96:99], a[92:93], v[40:41], v[96:99]// 000000008EC0: D3F30060 0D82515C
	v_mfma_f32_16x16x32_fp8_fp8 v[100:103], a[94:95], v[40:41], v[100:103]// 000000008EC8: D3F30064 0D92515E
	v_mfma_f32_16x16x32_fp8_fp8 v[104:107], a[96:97], v[40:41], v[104:107]// 000000008ED0: D3F30068 0DA25160
	ds_read_b128 a[128:131], v7 offset:51456                   // 000000008ED8: DBFEC900 80000007
	ds_read_b128 a[132:135], v7 offset:52480                   // 000000008EE0: DBFECD00 84000007
	v_mfma_f32_16x16x32_fp8_fp8 v[108:111], a[98:99], v[40:41], v[108:111]// 000000008EE8: D3F3006C 0DB25162
	v_mfma_f32_16x16x32_fp8_fp8 v[112:115], a[100:101], v[40:41], v[112:115]// 000000008EF0: D3F30070 0DC25164
	v_mfma_f32_16x16x32_fp8_fp8 v[116:119], a[102:103], v[40:41], v[116:119]// 000000008EF8: D3F30074 0DD25166
	s_waitcnt lgkmcnt(4)                                       // 000000008F00: BF8CC47F
	v_mfma_f32_16x16x32_fp8_fp8 v[120:123], a[104:105], v[40:41], v[120:123]// 000000008F04: D3F30078 0DE25168
	v_max3_f32 v24, v48, v49, v48                              // 000000008F0C: D1D30018 04C26330
	v_max3_f32 v24, v50, v51, v24                              // 000000008F14: D1D30018 04626732
	v_max3_f32 v24, v52, v53, v24                              // 000000008F1C: D1D30018 04626B34
	v_max3_f32 v24, v54, v55, v24                              // 000000008F24: D1D30018 04626F36
	ds_write_b32 v3, v24 offset:54528                          // 000000008F2C: D81AD500 00001803
	v_mfma_f32_16x16x32_fp8_fp8 v[124:127], a[106:107], v[40:41], v[124:127]// 000000008F34: D3F3007C 0DF2516A
	v_mfma_f32_16x16x32_fp8_fp8 v[128:131], a[108:109], v[40:41], v[128:131]// 000000008F3C: D3F30080 0E02516C
	v_mfma_f32_16x16x32_fp8_fp8 v[132:135], a[110:111], v[40:41], v[132:135]// 000000008F44: D3F30084 0E12516E
	v_mfma_f32_16x16x32_fp8_fp8 v[136:139], a[112:113], v[40:41], v[136:139]// 000000008F4C: D3F30088 0E225170
	v_mfma_f32_16x16x32_fp8_fp8 v[140:143], a[114:115], v[40:41], v[140:143]// 000000008F54: D3F3008C 0E325172
	v_mfma_f32_16x16x32_fp8_fp8 v[144:147], a[116:117], v[40:41], v[144:147]// 000000008F5C: D3F30090 0E425174
	v_mfma_f32_16x16x32_fp8_fp8 v[148:151], a[118:119], v[40:41], v[148:151]// 000000008F64: D3F30094 0E525176
	s_waitcnt lgkmcnt(0)                                       // 000000008F6C: BF8CC07F
	v_mfma_f32_16x16x32_fp8_fp8 v[152:155], a[120:121], v[40:41], v[152:155]// 000000008F70: D3F30098 0E625178
	s_waitcnt lgkmcnt(0)                                       // 000000008F78: BF8CC07F
	ds_read_b32 v20, v2 offset:54528                           // 000000008F7C: D86CD500 14000002
	ds_read_b32 v21, v2 offset:54592                           // 000000008F84: D86CD540 15000002
	v_mfma_f32_16x16x32_fp8_fp8 a[144:147], a[122:123], v[40:41], a[144:147]// 000000008F8C: D3F38090 0E42517A
	ds_read_b32 v22, v2 offset:54656                           // 000000008F94: D86CD580 16000002
	ds_read_b32 v23, v2 offset:54720                           // 000000008F9C: D86CD5C0 17000002
	v_mfma_f32_16x16x32_fp8_fp8 a[148:151], a[124:125], v[40:41], a[148:151]// 000000008FA4: D3F38094 0E52517C
	v_mfma_f32_16x16x32_fp8_fp8 a[152:155], a[126:127], v[40:41], a[152:155]// 000000008FAC: D3F38098 0E62517E
	v_mfma_f32_16x16x32_fp8_fp8 a[156:159], a[128:129], v[40:41], a[156:159]// 000000008FB4: D3F3809C 0E725180
	v_mfma_f32_16x16x32_fp8_fp8 a[160:163], a[130:131], v[40:41], a[160:163]// 000000008FBC: D3F380A0 0E825182
	v_mfma_f32_16x16x32_fp8_fp8 a[164:167], a[132:133], v[40:41], a[164:167]// 000000008FC4: D3F380A4 0E925184
	v_mfma_f32_16x16x32_fp8_fp8 a[168:171], a[134:135], v[40:41], a[168:171]// 000000008FCC: D3F380A8 0EA25186
	s_waitcnt lgkmcnt(0)                                       // 000000008FD4: BF8CC07F
	v_max3_f32 v24, v20, v21, v24                              // 000000008FD8: D1D30018 04622B14
	v_max3_f32 v24, v22, v23, v24                              // 000000008FE0: D1D30018 04622F16
	v_mov_b32_e32 v25, 0xff7fffff                              // 000000008FE8: 7E3202FF FF7FFFFF
	v_cmp_eq_u32_e64 s[38:39], v25, v13                        // 000000008FF0: D0CA0026 00021B19
	v_max_f32_e32 v20, v24, v13                                // 000000008FF8: 16281B18
	v_sub_f32_e32 v17, v13, v20                                // 000000008FFC: 0422290D
	v_cndmask_b32_e64 v17, v17, 0, s[38:39]                    // 000000009000: D1000011 00990111
	v_mov_b32_e32 v13, v20                                     // 000000009008: 7E1A0314
	v_mul_f32_e32 v21, s5, v20                                 // 00000000900C: 0A2A2805
	v_mul_f32_e32 v17, s5, v17                                 // 000000009010: 0A222205
	v_exp_f32_e32 v17, v17                                     // 000000009014: 7E224111
	v_fma_f32 v48, v48, s5, -v21                               // 000000009018: D1CB0030 84540B30
	v_fma_f32 v49, v49, s5, -v21                               // 000000009020: D1CB0031 84540B31
	v_fma_f32 v50, v50, s5, -v21                               // 000000009028: D1CB0032 84540B32
	v_fma_f32 v51, v51, s5, -v21                               // 000000009030: D1CB0033 84540B33
	v_fma_f32 v52, v52, s5, -v21                               // 000000009038: D1CB0034 84540B34
	v_fma_f32 v53, v53, s5, -v21                               // 000000009040: D1CB0035 84540B35
	v_fma_f32 v54, v54, s5, -v21                               // 000000009048: D1CB0036 84540B36
	v_fma_f32 v55, v55, s5, -v21                               // 000000009050: D1CB0037 84540B37
	v_exp_f32_e32 v48, v48                                     // 000000009058: 7E604130
	v_exp_f32_e32 v49, v49                                     // 00000000905C: 7E624131
	v_exp_f32_e32 v50, v50                                     // 000000009060: 7E644132
	v_exp_f32_e32 v51, v51                                     // 000000009064: 7E664133
	v_exp_f32_e32 v52, v52                                     // 000000009068: 7E684134
	v_exp_f32_e32 v53, v53                                     // 00000000906C: 7E6A4135
	v_exp_f32_e32 v54, v54                                     // 000000009070: 7E6C4136
	v_exp_f32_e32 v55, v55                                     // 000000009074: 7E6E4137
	v_mul_f32_e32 v15, v17, v15                                // 000000009078: 0A1E1F11
	v_mov_b32_e32 v22, v48                                     // 00000000907C: 7E2C0330
	v_add_f32_e32 v22, v49, v22                                // 000000009080: 022C2D31
	v_add_f32_e32 v22, v50, v22                                // 000000009084: 022C2D32
	v_add_f32_e32 v22, v51, v22                                // 000000009088: 022C2D33
	v_add_f32_e32 v22, v52, v22                                // 00000000908C: 022C2D34
	v_add_f32_e32 v22, v53, v22                                // 000000009090: 022C2D35
	v_add_f32_e32 v22, v54, v22                                // 000000009094: 022C2D36
	v_add_f32_e32 v22, v55, v22                                // 000000009098: 022C2D37
	v_add_f32_e32 v15, v22, v15                                // 00000000909C: 021E1F16
	v_cvt_pk_fp8_f32 v42, v48, v49                             // 0000000090A0: D2A2002A 00026330
	v_cvt_pk_fp8_f32 v42, v50, v51 op_sel:[0,0,1]              // 0000000090A8: D2A2402A 00026732
	v_cvt_pk_fp8_f32 v43, v52, v53                             // 0000000090B0: D2A2002B 00026B34
	v_cvt_pk_fp8_f32 v43, v54, v55 op_sel:[0,0,1]              // 0000000090B8: D2A2402B 00026F36
	s_nop 0                                                    // 0000000090C0: BF800000
	v_mov_b32_e32 v22, v17                                     // 0000000090C4: 7E2C0311
	v_mov_b32_e32 v23, v17                                     // 0000000090C8: 7E2E0311
	v_pk_mul_f32 v[156:157], v[22:23], v[156:157]              // 0000000090CC: D3B1409C 18033916
	v_pk_mul_f32 v[158:159], v[22:23], v[158:159]              // 0000000090D4: D3B1409E 18033D16
	v_pk_mul_f32 v[160:161], v[22:23], v[160:161]              // 0000000090DC: D3B140A0 18034116
	v_pk_mul_f32 v[162:163], v[22:23], v[162:163]              // 0000000090E4: D3B140A2 18034516
	v_pk_mul_f32 v[164:165], v[22:23], v[164:165]              // 0000000090EC: D3B140A4 18034916
	v_pk_mul_f32 v[166:167], v[22:23], v[166:167]              // 0000000090F4: D3B140A6 18034D16
	v_pk_mul_f32 v[168:169], v[22:23], v[168:169]              // 0000000090FC: D3B140A8 18035116
	v_pk_mul_f32 v[170:171], v[22:23], v[170:171]              // 000000009104: D3B140AA 18035516
	v_pk_mul_f32 v[172:173], v[22:23], v[172:173]              // 00000000910C: D3B140AC 18035916
	v_pk_mul_f32 v[174:175], v[22:23], v[174:175]              // 000000009114: D3B140AE 18035D16
	v_pk_mul_f32 v[176:177], v[22:23], v[176:177]              // 00000000911C: D3B140B0 18036116
	v_pk_mul_f32 v[178:179], v[22:23], v[178:179]              // 000000009124: D3B140B2 18036516
	v_pk_mul_f32 v[180:181], v[22:23], v[180:181]              // 00000000912C: D3B140B4 18036916
	v_pk_mul_f32 v[182:183], v[22:23], v[182:183]              // 000000009134: D3B140B6 18036D16
	v_pk_mul_f32 v[184:185], v[22:23], v[184:185]              // 00000000913C: D3B140B8 18037116
	v_pk_mul_f32 v[186:187], v[22:23], v[186:187]              // 000000009144: D3B140BA 18037516
	v_pk_mul_f32 v[188:189], v[22:23], v[188:189]              // 00000000914C: D3B140BC 18037916
	v_pk_mul_f32 v[190:191], v[22:23], v[190:191]              // 000000009154: D3B140BE 18037D16
	v_pk_mul_f32 v[192:193], v[22:23], v[192:193]              // 00000000915C: D3B140C0 18038116
	v_pk_mul_f32 v[194:195], v[22:23], v[194:195]              // 000000009164: D3B140C2 18038516
	v_pk_mul_f32 v[196:197], v[22:23], v[196:197]              // 00000000916C: D3B140C4 18038916
	v_pk_mul_f32 v[198:199], v[22:23], v[198:199]              // 000000009174: D3B140C6 18038D16
	v_pk_mul_f32 v[200:201], v[22:23], v[200:201]              // 00000000917C: D3B140C8 18039116
	v_pk_mul_f32 v[202:203], v[22:23], v[202:203]              // 000000009184: D3B140CA 18039516
	v_pk_mul_f32 v[204:205], v[22:23], v[204:205]              // 00000000918C: D3B140CC 18039916
	v_pk_mul_f32 v[206:207], v[22:23], v[206:207]              // 000000009194: D3B140CE 18039D16
	v_pk_mul_f32 v[208:209], v[22:23], v[208:209]              // 00000000919C: D3B140D0 1803A116
	v_pk_mul_f32 v[210:211], v[22:23], v[210:211]              // 0000000091A4: D3B140D2 1803A516
	v_pk_mul_f32 v[212:213], v[22:23], v[212:213]              // 0000000091AC: D3B140D4 1803A916
	v_pk_mul_f32 v[214:215], v[22:23], v[214:215]              // 0000000091B4: D3B140D6 1803AD16
	v_pk_mul_f32 v[216:217], v[22:23], v[216:217]              // 0000000091BC: D3B140D8 1803B116
	v_pk_mul_f32 v[218:219], v[22:23], v[218:219]              // 0000000091C4: D3B140DA 1803B516
	v_pk_mul_f32 v[220:221], v[22:23], v[220:221]              // 0000000091CC: D3B140DC 1803B916
	v_pk_mul_f32 v[222:223], v[22:23], v[222:223]              // 0000000091D4: D3B140DE 1803BD16
	v_pk_mul_f32 v[224:225], v[22:23], v[224:225]              // 0000000091DC: D3B140E0 1803C116
	v_pk_mul_f32 v[226:227], v[22:23], v[226:227]              // 0000000091E4: D3B140E2 1803C516
	v_pk_mul_f32 v[228:229], v[22:23], v[228:229]              // 0000000091EC: D3B140E4 1803C916
	v_pk_mul_f32 v[230:231], v[22:23], v[230:231]              // 0000000091F4: D3B140E6 1803CD16
	v_pk_mul_f32 v[232:233], v[22:23], v[232:233]              // 0000000091FC: D3B140E8 1803D116
	v_pk_mul_f32 v[234:235], v[22:23], v[234:235]              // 000000009204: D3B140EA 1803D516
	v_pk_mul_f32 v[236:237], v[22:23], v[236:237]              // 00000000920C: D3B140EC 1803D916
	v_pk_mul_f32 v[238:239], v[22:23], v[238:239]              // 000000009214: D3B140EE 1803DD16
	v_pk_mul_f32 v[240:241], v[22:23], v[240:241]              // 00000000921C: D3B140F0 1803E116
	v_pk_mul_f32 v[242:243], v[22:23], v[242:243]              // 000000009224: D3B140F2 1803E516
	v_pk_mul_f32 v[244:245], v[22:23], v[244:245]              // 00000000922C: D3B140F4 1803E916
	v_pk_mul_f32 v[246:247], v[22:23], v[246:247]              // 000000009234: D3B140F6 1803ED16
	v_pk_mul_f32 v[248:249], v[22:23], v[248:249]              // 00000000923C: D3B140F8 1803F116
	v_pk_mul_f32 v[250:251], v[22:23], v[250:251]              // 000000009244: D3B140FA 1803F516
	v_pk_mul_f32 v[252:253], v[22:23], v[252:253]              // 00000000924C: D3B140FC 1803F916
	v_pk_mul_f32 v[254:255], v[22:23], v[254:255]              // 000000009254: D3B140FE 1803FD16
	v_accvgpr_read_b32 v20, a172                               // 00000000925C: D3D84014 180001AC
	v_accvgpr_read_b32 v21, a173                               // 000000009264: D3D84015 180001AD
	v_pk_mul_f32 v[20:21], v[22:23], v[20:21]                  // 00000000926C: D3B14014 18022916
	v_accvgpr_write_b32 a172, v20                              // 000000009274: D3D940AC 18000114
	v_accvgpr_write_b32 a173, v21                              // 00000000927C: D3D940AD 18000115
	v_accvgpr_read_b32 v20, a174                               // 000000009284: D3D84014 180001AE
	v_accvgpr_read_b32 v21, a175                               // 00000000928C: D3D84015 180001AF
	v_pk_mul_f32 v[20:21], v[22:23], v[20:21]                  // 000000009294: D3B14014 18022916
	v_accvgpr_write_b32 a174, v20                              // 00000000929C: D3D940AE 18000114
	v_accvgpr_write_b32 a175, v21                              // 0000000092A4: D3D940AF 18000115
	v_accvgpr_read_b32 v20, a176                               // 0000000092AC: D3D84014 180001B0
	v_accvgpr_read_b32 v21, a177                               // 0000000092B4: D3D84015 180001B1
	v_pk_mul_f32 v[20:21], v[22:23], v[20:21]                  // 0000000092BC: D3B14014 18022916
	v_accvgpr_write_b32 a176, v20                              // 0000000092C4: D3D940B0 18000114
	v_accvgpr_write_b32 a177, v21                              // 0000000092CC: D3D940B1 18000115
	v_accvgpr_read_b32 v20, a178                               // 0000000092D4: D3D84014 180001B2
	v_accvgpr_read_b32 v21, a179                               // 0000000092DC: D3D84015 180001B3
	v_pk_mul_f32 v[20:21], v[22:23], v[20:21]                  // 0000000092E4: D3B14014 18022916
	v_accvgpr_write_b32 a178, v20                              // 0000000092EC: D3D940B2 18000114
	v_accvgpr_write_b32 a179, v21                              // 0000000092F4: D3D940B3 18000115
	v_accvgpr_read_b32 v20, a180                               // 0000000092FC: D3D84014 180001B4
	v_accvgpr_read_b32 v21, a181                               // 000000009304: D3D84015 180001B5
	v_pk_mul_f32 v[20:21], v[22:23], v[20:21]                  // 00000000930C: D3B14014 18022916
	v_accvgpr_write_b32 a180, v20                              // 000000009314: D3D940B4 18000114
	v_accvgpr_write_b32 a181, v21                              // 00000000931C: D3D940B5 18000115
	v_accvgpr_read_b32 v20, a182                               // 000000009324: D3D84014 180001B6
	v_accvgpr_read_b32 v21, a183                               // 00000000932C: D3D84015 180001B7
	v_pk_mul_f32 v[20:21], v[22:23], v[20:21]                  // 000000009334: D3B14014 18022916
	v_accvgpr_write_b32 a182, v20                              // 00000000933C: D3D940B6 18000114
	v_accvgpr_write_b32 a183, v21                              // 000000009344: D3D940B7 18000115
	v_accvgpr_read_b32 v20, a184                               // 00000000934C: D3D84014 180001B8
	v_accvgpr_read_b32 v21, a185                               // 000000009354: D3D84015 180001B9
	v_pk_mul_f32 v[20:21], v[22:23], v[20:21]                  // 00000000935C: D3B14014 18022916
	v_accvgpr_write_b32 a184, v20                              // 000000009364: D3D940B8 18000114
	v_accvgpr_write_b32 a185, v21                              // 00000000936C: D3D940B9 18000115
	v_accvgpr_read_b32 v20, a186                               // 000000009374: D3D84014 180001BA
	v_accvgpr_read_b32 v21, a187                               // 00000000937C: D3D84015 180001BB
	v_pk_mul_f32 v[20:21], v[22:23], v[20:21]                  // 000000009384: D3B14014 18022916
	v_accvgpr_write_b32 a186, v20                              // 00000000938C: D3D940BA 18000114
	v_accvgpr_write_b32 a187, v21                              // 000000009394: D3D940BB 18000115
	v_accvgpr_read_b32 v20, a188                               // 00000000939C: D3D84014 180001BC
	v_accvgpr_read_b32 v21, a189                               // 0000000093A4: D3D84015 180001BD
	v_pk_mul_f32 v[20:21], v[22:23], v[20:21]                  // 0000000093AC: D3B14014 18022916
	v_accvgpr_write_b32 a188, v20                              // 0000000093B4: D3D940BC 18000114
	v_accvgpr_write_b32 a189, v21                              // 0000000093BC: D3D940BD 18000115
	v_accvgpr_read_b32 v20, a190                               // 0000000093C4: D3D84014 180001BE
	v_accvgpr_read_b32 v21, a191                               // 0000000093CC: D3D84015 180001BF
	v_pk_mul_f32 v[20:21], v[22:23], v[20:21]                  // 0000000093D4: D3B14014 18022916
	v_accvgpr_write_b32 a190, v20                              // 0000000093DC: D3D940BE 18000114
	v_accvgpr_write_b32 a191, v21                              // 0000000093E4: D3D940BF 18000115
	v_accvgpr_read_b32 v20, a192                               // 0000000093EC: D3D84014 180001C0
	v_accvgpr_read_b32 v21, a193                               // 0000000093F4: D3D84015 180001C1
	v_pk_mul_f32 v[20:21], v[22:23], v[20:21]                  // 0000000093FC: D3B14014 18022916
	v_accvgpr_write_b32 a192, v20                              // 000000009404: D3D940C0 18000114
	v_accvgpr_write_b32 a193, v21                              // 00000000940C: D3D940C1 18000115
	v_accvgpr_read_b32 v20, a194                               // 000000009414: D3D84014 180001C2
	v_accvgpr_read_b32 v21, a195                               // 00000000941C: D3D84015 180001C3
	v_pk_mul_f32 v[20:21], v[22:23], v[20:21]                  // 000000009424: D3B14014 18022916
	v_accvgpr_write_b32 a194, v20                              // 00000000942C: D3D940C2 18000114
	v_accvgpr_write_b32 a195, v21                              // 000000009434: D3D940C3 18000115
	v_accvgpr_read_b32 v20, a196                               // 00000000943C: D3D84014 180001C4
	v_accvgpr_read_b32 v21, a197                               // 000000009444: D3D84015 180001C5
	v_pk_mul_f32 v[20:21], v[22:23], v[20:21]                  // 00000000944C: D3B14014 18022916
	v_accvgpr_write_b32 a196, v20                              // 000000009454: D3D940C4 18000114
	v_accvgpr_write_b32 a197, v21                              // 00000000945C: D3D940C5 18000115
	v_accvgpr_read_b32 v20, a198                               // 000000009464: D3D84014 180001C6
	v_accvgpr_read_b32 v21, a199                               // 00000000946C: D3D84015 180001C7
	v_pk_mul_f32 v[20:21], v[22:23], v[20:21]                  // 000000009474: D3B14014 18022916
	v_accvgpr_write_b32 a198, v20                              // 00000000947C: D3D940C6 18000114
	v_accvgpr_write_b32 a199, v21                              // 000000009484: D3D940C7 18000115
	s_waitcnt vmcnt(18) lgkmcnt(0)                             // 00000000948C: BF8C4072
	s_barrier                                                  // 000000009490: BF8A0000
	v_mfma_f32_16x16x32_fp8_fp8 v[156:159], a[72:73], v[42:43], v[156:159]// 000000009494: D3F3009C 0E725548
	v_mfma_f32_16x16x32_fp8_fp8 v[160:163], a[74:75], v[42:43], v[160:163]// 00000000949C: D3F300A0 0E82554A
	v_mfma_f32_16x16x32_fp8_fp8 v[164:167], a[76:77], v[42:43], v[164:167]// 0000000094A4: D3F300A4 0E92554C
	v_mfma_f32_16x16x32_fp8_fp8 v[168:171], a[78:79], v[42:43], v[168:171]// 0000000094AC: D3F300A8 0EA2554E
	v_mfma_f32_16x16x32_fp8_fp8 v[172:175], a[80:81], v[42:43], v[172:175]// 0000000094B4: D3F300AC 0EB25550
	v_mfma_f32_16x16x32_fp8_fp8 v[176:179], a[82:83], v[42:43], v[176:179]// 0000000094BC: D3F300B0 0EC25552
	v_mfma_f32_16x16x32_fp8_fp8 v[180:183], a[84:85], v[42:43], v[180:183]// 0000000094C4: D3F300B4 0ED25554
	v_mfma_f32_16x16x32_fp8_fp8 v[184:187], a[86:87], v[42:43], v[184:187]// 0000000094CC: D3F300B8 0EE25556
	v_mfma_f32_16x16x32_fp8_fp8 v[188:191], a[88:89], v[42:43], v[188:191]// 0000000094D4: D3F300BC 0EF25558
	v_mfma_f32_16x16x32_fp8_fp8 v[192:195], a[90:91], v[42:43], v[192:195]// 0000000094DC: D3F300C0 0F02555A
	v_mfma_f32_16x16x32_fp8_fp8 v[196:199], a[92:93], v[42:43], v[196:199]// 0000000094E4: D3F300C4 0F12555C
	v_mfma_f32_16x16x32_fp8_fp8 v[200:203], a[94:95], v[42:43], v[200:203]// 0000000094EC: D3F300C8 0F22555E
	v_mfma_f32_16x16x32_fp8_fp8 v[204:207], a[96:97], v[42:43], v[204:207]// 0000000094F4: D3F300CC 0F325560
	v_mfma_f32_16x16x32_fp8_fp8 v[208:211], a[98:99], v[42:43], v[208:211]// 0000000094FC: D3F300D0 0F425562
	v_mfma_f32_16x16x32_fp8_fp8 v[212:215], a[100:101], v[42:43], v[212:215]// 000000009504: D3F300D4 0F525564
	v_mfma_f32_16x16x32_fp8_fp8 v[216:219], a[102:103], v[42:43], v[216:219]// 00000000950C: D3F300D8 0F625566
	v_mfma_f32_16x16x32_fp8_fp8 v[220:223], a[104:105], v[42:43], v[220:223]// 000000009514: D3F300DC 0F725568
	v_mfma_f32_16x16x32_fp8_fp8 v[224:227], a[106:107], v[42:43], v[224:227]// 00000000951C: D3F300E0 0F82556A
	v_mfma_f32_16x16x32_fp8_fp8 v[228:231], a[108:109], v[42:43], v[228:231]// 000000009524: D3F300E4 0F92556C
	v_mfma_f32_16x16x32_fp8_fp8 v[232:235], a[110:111], v[42:43], v[232:235]// 00000000952C: D3F300E8 0FA2556E
	v_mfma_f32_16x16x32_fp8_fp8 v[236:239], a[112:113], v[42:43], v[236:239]// 000000009534: D3F300EC 0FB25570
	v_mfma_f32_16x16x32_fp8_fp8 v[240:243], a[114:115], v[42:43], v[240:243]// 00000000953C: D3F300F0 0FC25572
	v_mfma_f32_16x16x32_fp8_fp8 v[244:247], a[116:117], v[42:43], v[244:247]// 000000009544: D3F300F4 0FD25574
	v_mfma_f32_16x16x32_fp8_fp8 v[248:251], a[118:119], v[42:43], v[248:251]// 00000000954C: D3F300F8 0FE25576
	v_mfma_f32_16x16x32_fp8_fp8 v[252:255], a[120:121], v[42:43], v[252:255]// 000000009554: D3F300FC 0FF25578
	v_mfma_f32_16x16x32_fp8_fp8 a[172:175], a[122:123], v[42:43], a[172:175]// 00000000955C: D3F380AC 0EB2557A
	v_mfma_f32_16x16x32_fp8_fp8 a[176:179], a[124:125], v[42:43], a[176:179]// 000000009564: D3F380B0 0EC2557C
	v_mfma_f32_16x16x32_fp8_fp8 a[180:183], a[126:127], v[42:43], a[180:183]// 00000000956C: D3F380B4 0ED2557E
	v_mfma_f32_16x16x32_fp8_fp8 a[184:187], a[128:129], v[42:43], a[184:187]// 000000009574: D3F380B8 0EE25580
	v_mfma_f32_16x16x32_fp8_fp8 a[188:191], a[130:131], v[42:43], a[188:191]// 00000000957C: D3F380BC 0EF25582
	v_mfma_f32_16x16x32_fp8_fp8 a[192:195], a[132:133], v[42:43], a[192:195]// 000000009584: D3F380C0 0F025584
	v_mfma_f32_16x16x32_fp8_fp8 a[196:199], a[134:135], v[42:43], a[196:199]// 00000000958C: D3F380C4 0F125586
	s_nop 8                                                    // 000000009594: BF800008
	s_branch label_2113                                        // 000000009598: BF82046C

000000000000959c <label_1CA7>:
	s_waitcnt lgkmcnt(4)                                       // 00000000959C: BF8CC47F
	v_mfma_f32_16x16x32_fp8_fp8 v[40:43], a[72:73], a[0:1], 0  // 0000000095A0: D3F30028 1A020148
	ds_read_b128 a[104:107], v4 offset:20608                   // 0000000095A8: DBFE5080 68000004
	ds_read_b128 a[108:111], v4 offset:18688                   // 0000000095B0: DBFE4900 6C000004
	v_mfma_f32_16x16x32_fp8_fp8 v[40:43], a[74:75], a[2:3], v[40:43]// 0000000095B8: D3F30028 1CA2054A
	v_mfma_f32_16x16x32_fp8_fp8 v[40:43], a[76:77], a[4:5], v[40:43]// 0000000095C0: D3F30028 1CA2094C
	v_mfma_f32_16x16x32_fp8_fp8 v[40:43], a[78:79], a[6:7], v[40:43]// 0000000095C8: D3F30028 1CA20D4E
	v_mfma_f32_16x16x32_fp8_fp8 v[40:43], a[80:81], a[8:9], v[40:43]// 0000000095D0: D3F30028 1CA21150
	ds_read_b128 a[112:115], v4 offset:18944                   // 0000000095D8: DBFE4A00 70000004
	ds_read_b128 a[116:119], v4 offset:19200                   // 0000000095E0: DBFE4B00 74000004
	v_mfma_f32_16x16x32_fp8_fp8 v[40:43], a[82:83], a[10:11], v[40:43]// 0000000095E8: D3F30028 1CA21552
	v_mfma_f32_16x16x32_fp8_fp8 v[40:43], a[84:85], a[12:13], v[40:43]// 0000000095F0: D3F30028 1CA21954
	v_mfma_f32_16x16x32_fp8_fp8 v[40:43], a[86:87], a[14:15], v[40:43]// 0000000095F8: D3F30028 1CA21D56
	s_waitcnt lgkmcnt(4)                                       // 000000009600: BF8CC47F
	v_mfma_f32_16x16x32_fp8_fp8 v[40:43], a[88:89], a[16:17], v[40:43]// 000000009604: D3F30028 1CA22158
	ds_read_b128 a[120:123], v4 offset:19456                   // 00000000960C: DBFE4C00 78000004
	ds_read_b128 a[124:127], v4 offset:19712                   // 000000009614: DBFE4D00 7C000004
	v_mfma_f32_16x16x32_fp8_fp8 v[40:43], a[90:91], a[18:19], v[40:43]// 00000000961C: D3F30028 1CA2255A
	v_mfma_f32_16x16x32_fp8_fp8 v[40:43], a[92:93], a[20:21], v[40:43]// 000000009624: D3F30028 1CA2295C
	v_mfma_f32_16x16x32_fp8_fp8 v[40:43], a[94:95], a[22:23], v[40:43]// 00000000962C: D3F30028 1CA22D5E
	v_mfma_f32_16x16x32_fp8_fp8 v[40:43], a[96:97], a[24:25], v[40:43]// 000000009634: D3F30028 1CA23160
	ds_read_b128 a[128:131], v4 offset:19968                   // 00000000963C: DBFE4E00 80000004
	ds_read_b128 a[132:135], v4 offset:20224                   // 000000009644: DBFE4F00 84000004
	v_mfma_f32_16x16x32_fp8_fp8 v[40:43], a[98:99], a[26:27], v[40:43]// 00000000964C: D3F30028 1CA23562
	v_mfma_f32_16x16x32_fp8_fp8 v[40:43], a[100:101], a[28:29], v[40:43]// 000000009654: D3F30028 1CA23964
	v_mfma_f32_16x16x32_fp8_fp8 v[40:43], a[102:103], a[30:31], v[40:43]// 00000000965C: D3F30028 1CA23D66
	s_waitcnt lgkmcnt(4)                                       // 000000009664: BF8CC47F
	s_barrier                                                  // 000000009668: BF8A0000
	v_mfma_f32_16x16x32_fp8_fp8 v[40:43], a[104:105], a[32:33], v[40:43]// 00000000966C: D3F30028 1CA24168
	ds_read_b128 a[136:139], v4 offset:20480                   // 000000009674: DBFE5000 88000004
	ds_read_b128 a[140:143], v4 offset:20736                   // 00000000967C: DBFE5100 8C000004
	v_mfma_f32_16x16x32_fp8_fp8 v[40:43], a[106:107], a[34:35], v[40:43]// 000000009684: D3F30028 1CA2456A
	v_mfma_f32_16x16x32_fp8_fp8 v[44:47], a[108:109], a[0:1], 0// 00000000968C: D3F3002C 1A02016C
	v_perm_b32 v32, v22, v20, s52                              // 000000009694: D1ED0020 00D22916
	v_perm_b32 v33, v22, v20, s53                              // 00000000969C: D1ED0021 00D62916
	v_perm_b32 v34, v23, v21, s52                              // 0000000096A4: D1ED0022 00D22B17
	v_perm_b32 v35, v23, v21, s53                              // 0000000096AC: D1ED0023 00D62B17
	v_perm_b32 v28, v34, v32, s54                              // 0000000096B4: D1ED001C 00DA4122
	v_perm_b32 v36, v34, v32, s55                              // 0000000096BC: D1ED0024 00DE4122
	v_perm_b32 v30, v35, v33, s54                              // 0000000096C4: D1ED001E 00DA4323
	v_perm_b32 v38, v35, v33, s55                              // 0000000096CC: D1ED0026 00DE4323
	v_mfma_f32_16x16x32_fp8_fp8 v[44:47], a[110:111], a[2:3], v[44:47]// 0000000096D4: D3F3002C 1CB2056E
	v_mfma_f32_16x16x32_fp8_fp8 v[44:47], a[112:113], a[4:5], v[44:47]// 0000000096DC: D3F3002C 1CB20970
	v_perm_b32 v32, v26, v24, s52                              // 0000000096E4: D1ED0020 00D2311A
	v_perm_b32 v33, v26, v24, s53                              // 0000000096EC: D1ED0021 00D6311A
	v_perm_b32 v34, v27, v25, s52                              // 0000000096F4: D1ED0022 00D2331B
	v_perm_b32 v35, v27, v25, s53                              // 0000000096FC: D1ED0023 00D6331B
	v_perm_b32 v29, v34, v32, s54                              // 000000009704: D1ED001D 00DA4122
	v_perm_b32 v37, v34, v32, s55                              // 00000000970C: D1ED0025 00DE4122
	v_perm_b32 v31, v35, v33, s54                              // 000000009714: D1ED001F 00DA4323
	v_perm_b32 v39, v35, v33, s55                              // 00000000971C: D1ED0027 00DE4323
	v_mfma_f32_16x16x32_fp8_fp8 v[44:47], a[114:115], a[6:7], v[44:47]// 000000009724: D3F3002C 1CB20D72
	v_mfma_f32_16x16x32_fp8_fp8 v[44:47], a[116:117], a[8:9], v[44:47]// 00000000972C: D3F3002C 1CB21174
	ds_write_b128 v6, v[28:31] offset:45312                    // 000000009734: D9BEB100 00001C06
	v_mfma_f32_16x16x32_fp8_fp8 v[44:47], a[118:119], a[10:11], v[44:47]// 00000000973C: D3F3002C 1CB21576
	s_waitcnt lgkmcnt(1)                                       // 000000009744: BF8CC17F
	v_mfma_f32_16x16x32_fp8_fp8 v[44:47], a[120:121], a[12:13], v[44:47]// 000000009748: D3F3002C 1CB21978
	ds_write_b128 v6, v[36:39] offset:46336                    // 000000009750: D9BEB500 00002406
	v_mfma_f32_16x16x32_fp8_fp8 v[44:47], a[122:123], a[14:15], v[44:47]// 000000009758: D3F3002C 1CB21D7A
	v_mfma_f32_16x16x32_fp8_fp8 v[44:47], a[124:125], a[16:17], v[44:47]// 000000009760: D3F3002C 1CB2217C
	v_mfma_f32_16x16x32_fp8_fp8 v[44:47], a[126:127], a[18:19], v[44:47]// 000000009768: D3F3002C 1CB2257E
	v_mfma_f32_16x16x32_fp8_fp8 v[44:47], a[128:129], a[20:21], v[44:47]// 000000009770: D3F3002C 1CB22980
	v_mfma_f32_16x16x32_fp8_fp8 v[44:47], a[130:131], a[22:23], v[44:47]// 000000009778: D3F3002C 1CB22D82
	v_mfma_f32_16x16x32_fp8_fp8 v[44:47], a[132:133], a[24:25], v[44:47]// 000000009780: D3F3002C 1CB23184
	v_mfma_f32_16x16x32_fp8_fp8 v[44:47], a[134:135], a[26:27], v[44:47]// 000000009788: D3F3002C 1CB23586
	v_mfma_f32_16x16x32_fp8_fp8 v[44:47], a[136:137], a[28:29], v[44:47]// 000000009790: D3F3002C 1CB23988
	v_mfma_f32_16x16x32_fp8_fp8 v[44:47], a[138:139], a[30:31], v[44:47]// 000000009798: D3F3002C 1CB23D8A
	v_mfma_f32_16x16x32_fp8_fp8 v[44:47], a[140:141], a[32:33], v[44:47]// 0000000097A0: D3F3002C 1CB2418C
	v_mfma_f32_16x16x32_fp8_fp8 v[44:47], a[142:143], a[34:35], v[44:47]// 0000000097A8: D3F3002C 1CB2458E
	s_waitcnt lgkmcnt(0)                                       // 0000000097B0: BF8CC07F
	s_barrier                                                  // 0000000097B4: BF8A0000
	v_mov_b32_e32 v25, 0xff800000                              // 0000000097B8: 7E3202FF FF800000
	s_and_b32 s56, s48, 0xff                                   // 0000000097C0: 8638FF30 000000FF
	v_mov_b32_e32 v24, s56                                     // 0000000097C8: 7E300238
	v_lshrrev_b32_e32 v20, 4, v0                               // 0000000097CC: 20280084
	v_mul_i32_i24_e32 v20, 4, v20                              // 0000000097D0: 0C282884
	v_add_u32_e32 v21, 1, v20                                  // 0000000097D4: 682A2881
	v_add_u32_e32 v22, 2, v20                                  // 0000000097D8: 682C2882
	v_add_u32_e32 v23, 3, v20                                  // 0000000097DC: 682E2883
	v_cmp_lt_u32_e64 s[38:39], v20, v24                        // 0000000097E0: D0C90026 00023114
	v_add_u32_e32 v20, 16, v20                                 // 0000000097E8: 68282890
	s_nop 0                                                    // 0000000097EC: BF800000
	v_cndmask_b32_e64 v40, v25, v40, s[38:39]                  // 0000000097F0: D1000028 009A5119
	v_cmp_lt_u32_e64 s[38:39], v21, v24                        // 0000000097F8: D0C90026 00023115
	v_add_u32_e32 v21, 16, v21                                 // 000000009800: 682A2A90
	s_nop 0                                                    // 000000009804: BF800000
	v_cndmask_b32_e64 v41, v25, v41, s[38:39]                  // 000000009808: D1000029 009A5319
	v_cmp_lt_u32_e64 s[38:39], v22, v24                        // 000000009810: D0C90026 00023116
	v_add_u32_e32 v22, 16, v22                                 // 000000009818: 682C2C90
	s_nop 0                                                    // 00000000981C: BF800000
	v_cndmask_b32_e64 v42, v25, v42, s[38:39]                  // 000000009820: D100002A 009A5519
	v_cmp_lt_u32_e64 s[38:39], v23, v24                        // 000000009828: D0C90026 00023117
	v_add_u32_e32 v23, 16, v23                                 // 000000009830: 682E2E90
	s_nop 0                                                    // 000000009834: BF800000
	v_cndmask_b32_e64 v43, v25, v43, s[38:39]                  // 000000009838: D100002B 009A5719
	v_cmp_lt_u32_e64 s[38:39], v20, v24                        // 000000009840: D0C90026 00023114
	v_add_u32_e32 v20, 16, v20                                 // 000000009848: 68282890
	s_nop 0                                                    // 00000000984C: BF800000
	v_cndmask_b32_e64 v44, v25, v44, s[38:39]                  // 000000009850: D100002C 009A5919
	v_cmp_lt_u32_e64 s[38:39], v21, v24                        // 000000009858: D0C90026 00023115
	v_add_u32_e32 v21, 16, v21                                 // 000000009860: 682A2A90
	s_nop 0                                                    // 000000009864: BF800000
	v_cndmask_b32_e64 v45, v25, v45, s[38:39]                  // 000000009868: D100002D 009A5B19
	v_cmp_lt_u32_e64 s[38:39], v22, v24                        // 000000009870: D0C90026 00023116
	v_add_u32_e32 v22, 16, v22                                 // 000000009878: 682C2C90
	s_nop 0                                                    // 00000000987C: BF800000
	v_cndmask_b32_e64 v46, v25, v46, s[38:39]                  // 000000009880: D100002E 009A5D19
	v_cmp_lt_u32_e64 s[38:39], v23, v24                        // 000000009888: D0C90026 00023117
	v_add_u32_e32 v23, 16, v23                                 // 000000009890: 682E2E90
	s_nop 0                                                    // 000000009894: BF800000
	v_cndmask_b32_e64 v47, v25, v47, s[38:39]                  // 000000009898: D100002F 009A5F19
	v_mfma_f32_16x16x32_fp8_fp8 v[48:51], a[72:73], a[36:37], 0// 0000000098A0: D3F30030 1A024948
	v_mfma_f32_16x16x32_fp8_fp8 v[48:51], a[74:75], a[38:39], v[48:51]// 0000000098A8: D3F30030 1CC24D4A
	v_max3_f32 v24, v40, v41, v40                              // 0000000098B0: D1D30018 04A25328
	v_max3_f32 v24, v42, v43, v24                              // 0000000098B8: D1D30018 0462572A
	v_max3_f32 v24, v44, v45, v24                              // 0000000098C0: D1D30018 04625B2C
	v_max3_f32 v24, v46, v47, v24                              // 0000000098C8: D1D30018 04625F2E
	ds_write_b32 v3, v24 offset:53504                          // 0000000098D0: D81AD100 00001803
	v_mfma_f32_16x16x32_fp8_fp8 v[48:51], a[76:77], a[40:41], v[48:51]// 0000000098D8: D3F30030 1CC2514C
	v_mfma_f32_16x16x32_fp8_fp8 v[48:51], a[78:79], a[42:43], v[48:51]// 0000000098E0: D3F30030 1CC2554E
	v_mfma_f32_16x16x32_fp8_fp8 v[48:51], a[80:81], a[44:45], v[48:51]// 0000000098E8: D3F30030 1CC25950
	v_mfma_f32_16x16x32_fp8_fp8 v[48:51], a[82:83], a[46:47], v[48:51]// 0000000098F0: D3F30030 1CC25D52
	v_mfma_f32_16x16x32_fp8_fp8 v[48:51], a[84:85], a[48:49], v[48:51]// 0000000098F8: D3F30030 1CC26154
	s_waitcnt lgkmcnt(0)                                       // 000000009900: BF8CC07F
	ds_read_b32 v20, v2 offset:53504                           // 000000009904: D86CD100 14000002
	ds_read_b32 v21, v2 offset:53568                           // 00000000990C: D86CD140 15000002
	v_mfma_f32_16x16x32_fp8_fp8 v[48:51], a[86:87], a[50:51], v[48:51]// 000000009914: D3F30030 1CC26556
	ds_read_b32 v22, v2 offset:53632                           // 00000000991C: D86CD180 16000002
	ds_read_b32 v23, v2 offset:53696                           // 000000009924: D86CD1C0 17000002
	v_mfma_f32_16x16x32_fp8_fp8 v[48:51], a[88:89], a[52:53], v[48:51]// 00000000992C: D3F30030 1CC26958
	v_mfma_f32_16x16x32_fp8_fp8 v[48:51], a[90:91], a[54:55], v[48:51]// 000000009934: D3F30030 1CC26D5A
	v_mfma_f32_16x16x32_fp8_fp8 v[48:51], a[92:93], a[56:57], v[48:51]// 00000000993C: D3F30030 1CC2715C
	v_mfma_f32_16x16x32_fp8_fp8 v[48:51], a[94:95], a[58:59], v[48:51]// 000000009944: D3F30030 1CC2755E
	v_mfma_f32_16x16x32_fp8_fp8 v[48:51], a[96:97], a[60:61], v[48:51]// 00000000994C: D3F30030 1CC27960
	v_mfma_f32_16x16x32_fp8_fp8 v[48:51], a[98:99], a[62:63], v[48:51]// 000000009954: D3F30030 1CC27D62
	v_mfma_f32_16x16x32_fp8_fp8 v[48:51], a[100:101], a[64:65], v[48:51]// 00000000995C: D3F30030 1CC28164
	s_waitcnt lgkmcnt(0)                                       // 000000009964: BF8CC07F
	v_max3_f32 v24, v20, v21, v24                              // 000000009968: D1D30018 04622B14
	v_max3_f32 v24, v22, v23, v24                              // 000000009970: D1D30018 04622F16
	v_mfma_f32_16x16x32_fp8_fp8 v[48:51], a[102:103], a[66:67], v[48:51]// 000000009978: D3F30030 1CC28566
	v_mfma_f32_16x16x32_fp8_fp8 v[48:51], a[104:105], a[68:69], v[48:51]// 000000009980: D3F30030 1CC28968
	v_mfma_f32_16x16x32_fp8_fp8 v[48:51], a[106:107], a[70:71], v[48:51]// 000000009988: D3F30030 1CC28D6A
	v_mfma_f32_16x16x32_fp8_fp8 v[52:55], a[108:109], a[36:37], 0// 000000009990: D3F30034 1A02496C
	v_mfma_f32_16x16x32_fp8_fp8 v[52:55], a[110:111], a[38:39], v[52:55]// 000000009998: D3F30034 1CD24D6E
	v_mfma_f32_16x16x32_fp8_fp8 v[52:55], a[112:113], a[40:41], v[52:55]// 0000000099A0: D3F30034 1CD25170
	ds_read_b128 a[72:75], v7 offset:37120                     // 0000000099A8: DBFE9100 48000007
	ds_read_b128 a[76:79], v7 offset:38144                     // 0000000099B0: DBFE9500 4C000007
	v_mfma_f32_16x16x32_fp8_fp8 v[52:55], a[114:115], a[42:43], v[52:55]// 0000000099B8: D3F30034 1CD25572
	v_mfma_f32_16x16x32_fp8_fp8 v[52:55], a[116:117], a[44:45], v[52:55]// 0000000099C0: D3F30034 1CD25974
	v_mfma_f32_16x16x32_fp8_fp8 v[52:55], a[118:119], a[46:47], v[52:55]// 0000000099C8: D3F30034 1CD25D76
	v_mfma_f32_16x16x32_fp8_fp8 v[52:55], a[120:121], a[48:49], v[52:55]// 0000000099D0: D3F30034 1CD26178
	ds_read_b128 a[80:83], v7 offset:39168                     // 0000000099D8: DBFE9900 50000007
	ds_read_b128 a[84:87], v7 offset:40192                     // 0000000099E0: DBFE9D00 54000007
	v_mfma_f32_16x16x32_fp8_fp8 v[52:55], a[122:123], a[50:51], v[52:55]// 0000000099E8: D3F30034 1CD2657A
	v_mfma_f32_16x16x32_fp8_fp8 v[52:55], a[124:125], a[52:53], v[52:55]// 0000000099F0: D3F30034 1CD2697C
	v_mfma_f32_16x16x32_fp8_fp8 v[52:55], a[126:127], a[54:55], v[52:55]// 0000000099F8: D3F30034 1CD26D7E
	v_mfma_f32_16x16x32_fp8_fp8 v[52:55], a[128:129], a[56:57], v[52:55]// 000000009A00: D3F30034 1CD27180
	ds_read_b128 a[88:91], v7 offset:41216                     // 000000009A08: DBFEA100 58000007
	ds_read_b128 a[92:95], v7 offset:42240                     // 000000009A10: DBFEA500 5C000007
	v_mfma_f32_16x16x32_fp8_fp8 v[52:55], a[130:131], a[58:59], v[52:55]// 000000009A18: D3F30034 1CD27582
	v_mfma_f32_16x16x32_fp8_fp8 v[52:55], a[132:133], a[60:61], v[52:55]// 000000009A20: D3F30034 1CD27984
	v_mfma_f32_16x16x32_fp8_fp8 v[52:55], a[134:135], a[62:63], v[52:55]// 000000009A28: D3F30034 1CD27D86
	v_mfma_f32_16x16x32_fp8_fp8 v[52:55], a[136:137], a[64:65], v[52:55]// 000000009A30: D3F30034 1CD28188
	ds_read_b128 a[96:99], v7 offset:43264                     // 000000009A38: DBFEA900 60000007
	ds_read_b128 a[100:103], v7 offset:44288                   // 000000009A40: DBFEAD00 64000007
	v_mfma_f32_16x16x32_fp8_fp8 v[52:55], a[138:139], a[66:67], v[52:55]// 000000009A48: D3F30034 1CD2858A
	v_mfma_f32_16x16x32_fp8_fp8 v[52:55], a[140:141], a[68:69], v[52:55]// 000000009A50: D3F30034 1CD2898C
	v_mfma_f32_16x16x32_fp8_fp8 v[52:55], a[142:143], a[70:71], v[52:55]// 000000009A58: D3F30034 1CD28D8E
	v_mov_b32_e32 v25, 0xff7fffff                              // 000000009A60: 7E3202FF FF7FFFFF
	v_cmp_eq_u32_e64 s[38:39], v25, v12                        // 000000009A68: D0CA0026 00021919
	v_max_f32_e32 v20, v24, v12                                // 000000009A70: 16281918
	v_sub_f32_e32 v16, v12, v20                                // 000000009A74: 0420290C
	v_cndmask_b32_e64 v16, v16, 0, s[38:39]                    // 000000009A78: D1000010 00990110
	v_mov_b32_e32 v12, v20                                     // 000000009A80: 7E180314
	v_mul_f32_e32 v21, s5, v20                                 // 000000009A84: 0A2A2805
	v_mul_f32_e32 v16, s5, v16                                 // 000000009A88: 0A202005
	v_exp_f32_e32 v16, v16                                     // 000000009A8C: 7E204110
	v_fma_f32 v40, v40, s5, -v21                               // 000000009A90: D1CB0028 84540B28
	v_fma_f32 v41, v41, s5, -v21                               // 000000009A98: D1CB0029 84540B29
	v_fma_f32 v42, v42, s5, -v21                               // 000000009AA0: D1CB002A 84540B2A
	v_fma_f32 v43, v43, s5, -v21                               // 000000009AA8: D1CB002B 84540B2B
	v_fma_f32 v44, v44, s5, -v21                               // 000000009AB0: D1CB002C 84540B2C
	v_fma_f32 v45, v45, s5, -v21                               // 000000009AB8: D1CB002D 84540B2D
	v_fma_f32 v46, v46, s5, -v21                               // 000000009AC0: D1CB002E 84540B2E
	v_fma_f32 v47, v47, s5, -v21                               // 000000009AC8: D1CB002F 84540B2F
	v_exp_f32_e32 v40, v40                                     // 000000009AD0: 7E504128
	v_exp_f32_e32 v41, v41                                     // 000000009AD4: 7E524129
	v_exp_f32_e32 v42, v42                                     // 000000009AD8: 7E54412A
	v_exp_f32_e32 v43, v43                                     // 000000009ADC: 7E56412B
	v_exp_f32_e32 v44, v44                                     // 000000009AE0: 7E58412C
	v_exp_f32_e32 v45, v45                                     // 000000009AE4: 7E5A412D
	v_exp_f32_e32 v46, v46                                     // 000000009AE8: 7E5C412E
	v_exp_f32_e32 v47, v47                                     // 000000009AEC: 7E5E412F
	v_mul_f32_e32 v14, v16, v14                                // 000000009AF0: 0A1C1D10
	v_mov_b32_e32 v22, v40                                     // 000000009AF4: 7E2C0328
	v_add_f32_e32 v22, v41, v22                                // 000000009AF8: 022C2D29
	v_add_f32_e32 v22, v42, v22                                // 000000009AFC: 022C2D2A
	v_add_f32_e32 v22, v43, v22                                // 000000009B00: 022C2D2B
	v_add_f32_e32 v22, v44, v22                                // 000000009B04: 022C2D2C
	v_add_f32_e32 v22, v45, v22                                // 000000009B08: 022C2D2D
	v_add_f32_e32 v22, v46, v22                                // 000000009B0C: 022C2D2E
	v_add_f32_e32 v22, v47, v22                                // 000000009B10: 022C2D2F
	v_add_f32_e32 v14, v22, v14                                // 000000009B14: 021C1D16
	v_cvt_pk_fp8_f32 v40, v40, v41                             // 000000009B18: D2A20028 00025328
	v_cvt_pk_fp8_f32 v40, v42, v43 op_sel:[0,0,1]              // 000000009B20: D2A24028 0002572A
	v_cvt_pk_fp8_f32 v41, v44, v45                             // 000000009B28: D2A20029 00025B2C
	v_cvt_pk_fp8_f32 v41, v46, v47 op_sel:[0,0,1]              // 000000009B30: D2A24029 00025F2E
	s_nop 0                                                    // 000000009B38: BF800000
	v_mov_b32_e32 v22, v16                                     // 000000009B3C: 7E2C0310
	v_mov_b32_e32 v23, v16                                     // 000000009B40: 7E2E0310
	v_pk_mul_f32 v[56:57], v[22:23], v[56:57]                  // 000000009B44: D3B14038 18027116
	v_pk_mul_f32 v[58:59], v[22:23], v[58:59]                  // 000000009B4C: D3B1403A 18027516
	v_pk_mul_f32 v[60:61], v[22:23], v[60:61]                  // 000000009B54: D3B1403C 18027916
	v_pk_mul_f32 v[62:63], v[22:23], v[62:63]                  // 000000009B5C: D3B1403E 18027D16
	v_pk_mul_f32 v[64:65], v[22:23], v[64:65]                  // 000000009B64: D3B14040 18028116
	v_pk_mul_f32 v[66:67], v[22:23], v[66:67]                  // 000000009B6C: D3B14042 18028516
	v_pk_mul_f32 v[68:69], v[22:23], v[68:69]                  // 000000009B74: D3B14044 18028916
	v_pk_mul_f32 v[70:71], v[22:23], v[70:71]                  // 000000009B7C: D3B14046 18028D16
	v_pk_mul_f32 v[72:73], v[22:23], v[72:73]                  // 000000009B84: D3B14048 18029116
	v_pk_mul_f32 v[74:75], v[22:23], v[74:75]                  // 000000009B8C: D3B1404A 18029516
	v_pk_mul_f32 v[76:77], v[22:23], v[76:77]                  // 000000009B94: D3B1404C 18029916
	v_pk_mul_f32 v[78:79], v[22:23], v[78:79]                  // 000000009B9C: D3B1404E 18029D16
	v_pk_mul_f32 v[80:81], v[22:23], v[80:81]                  // 000000009BA4: D3B14050 1802A116
	v_pk_mul_f32 v[82:83], v[22:23], v[82:83]                  // 000000009BAC: D3B14052 1802A516
	v_pk_mul_f32 v[84:85], v[22:23], v[84:85]                  // 000000009BB4: D3B14054 1802A916
	v_pk_mul_f32 v[86:87], v[22:23], v[86:87]                  // 000000009BBC: D3B14056 1802AD16
	v_pk_mul_f32 v[88:89], v[22:23], v[88:89]                  // 000000009BC4: D3B14058 1802B116
	v_pk_mul_f32 v[90:91], v[22:23], v[90:91]                  // 000000009BCC: D3B1405A 1802B516
	v_pk_mul_f32 v[92:93], v[22:23], v[92:93]                  // 000000009BD4: D3B1405C 1802B916
	v_pk_mul_f32 v[94:95], v[22:23], v[94:95]                  // 000000009BDC: D3B1405E 1802BD16
	v_pk_mul_f32 v[96:97], v[22:23], v[96:97]                  // 000000009BE4: D3B14060 1802C116
	v_pk_mul_f32 v[98:99], v[22:23], v[98:99]                  // 000000009BEC: D3B14062 1802C516
	v_pk_mul_f32 v[100:101], v[22:23], v[100:101]              // 000000009BF4: D3B14064 1802C916
	v_pk_mul_f32 v[102:103], v[22:23], v[102:103]              // 000000009BFC: D3B14066 1802CD16
	v_pk_mul_f32 v[104:105], v[22:23], v[104:105]              // 000000009C04: D3B14068 1802D116
	v_pk_mul_f32 v[106:107], v[22:23], v[106:107]              // 000000009C0C: D3B1406A 1802D516
	v_pk_mul_f32 v[108:109], v[22:23], v[108:109]              // 000000009C14: D3B1406C 1802D916
	v_pk_mul_f32 v[110:111], v[22:23], v[110:111]              // 000000009C1C: D3B1406E 1802DD16
	v_pk_mul_f32 v[112:113], v[22:23], v[112:113]              // 000000009C24: D3B14070 1802E116
	v_pk_mul_f32 v[114:115], v[22:23], v[114:115]              // 000000009C2C: D3B14072 1802E516
	v_pk_mul_f32 v[116:117], v[22:23], v[116:117]              // 000000009C34: D3B14074 1802E916
	v_pk_mul_f32 v[118:119], v[22:23], v[118:119]              // 000000009C3C: D3B14076 1802ED16
	v_pk_mul_f32 v[120:121], v[22:23], v[120:121]              // 000000009C44: D3B14078 1802F116
	v_pk_mul_f32 v[122:123], v[22:23], v[122:123]              // 000000009C4C: D3B1407A 1802F516
	v_pk_mul_f32 v[124:125], v[22:23], v[124:125]              // 000000009C54: D3B1407C 1802F916
	v_pk_mul_f32 v[126:127], v[22:23], v[126:127]              // 000000009C5C: D3B1407E 1802FD16
	v_pk_mul_f32 v[128:129], v[22:23], v[128:129]              // 000000009C64: D3B14080 18030116
	v_pk_mul_f32 v[130:131], v[22:23], v[130:131]              // 000000009C6C: D3B14082 18030516
	v_pk_mul_f32 v[132:133], v[22:23], v[132:133]              // 000000009C74: D3B14084 18030916
	v_pk_mul_f32 v[134:135], v[22:23], v[134:135]              // 000000009C7C: D3B14086 18030D16
	v_pk_mul_f32 v[136:137], v[22:23], v[136:137]              // 000000009C84: D3B14088 18031116
	v_pk_mul_f32 v[138:139], v[22:23], v[138:139]              // 000000009C8C: D3B1408A 18031516
	v_pk_mul_f32 v[140:141], v[22:23], v[140:141]              // 000000009C94: D3B1408C 18031916
	v_pk_mul_f32 v[142:143], v[22:23], v[142:143]              // 000000009C9C: D3B1408E 18031D16
	v_pk_mul_f32 v[144:145], v[22:23], v[144:145]              // 000000009CA4: D3B14090 18032116
	v_pk_mul_f32 v[146:147], v[22:23], v[146:147]              // 000000009CAC: D3B14092 18032516
	v_pk_mul_f32 v[148:149], v[22:23], v[148:149]              // 000000009CB4: D3B14094 18032916
	v_pk_mul_f32 v[150:151], v[22:23], v[150:151]              // 000000009CBC: D3B14096 18032D16
	v_pk_mul_f32 v[152:153], v[22:23], v[152:153]              // 000000009CC4: D3B14098 18033116
	v_pk_mul_f32 v[154:155], v[22:23], v[154:155]              // 000000009CCC: D3B1409A 18033516
	v_accvgpr_read_b32 v20, a144                               // 000000009CD4: D3D84014 18000190
	v_accvgpr_read_b32 v21, a145                               // 000000009CDC: D3D84015 18000191
	v_pk_mul_f32 v[20:21], v[22:23], v[20:21]                  // 000000009CE4: D3B14014 18022916
	v_accvgpr_write_b32 a144, v20                              // 000000009CEC: D3D94090 18000114
	v_accvgpr_write_b32 a145, v21                              // 000000009CF4: D3D94091 18000115
	v_accvgpr_read_b32 v20, a146                               // 000000009CFC: D3D84014 18000192
	v_accvgpr_read_b32 v21, a147                               // 000000009D04: D3D84015 18000193
	v_pk_mul_f32 v[20:21], v[22:23], v[20:21]                  // 000000009D0C: D3B14014 18022916
	v_accvgpr_write_b32 a146, v20                              // 000000009D14: D3D94092 18000114
	v_accvgpr_write_b32 a147, v21                              // 000000009D1C: D3D94093 18000115
	v_accvgpr_read_b32 v20, a148                               // 000000009D24: D3D84014 18000194
	v_accvgpr_read_b32 v21, a149                               // 000000009D2C: D3D84015 18000195
	v_pk_mul_f32 v[20:21], v[22:23], v[20:21]                  // 000000009D34: D3B14014 18022916
	v_accvgpr_write_b32 a148, v20                              // 000000009D3C: D3D94094 18000114
	v_accvgpr_write_b32 a149, v21                              // 000000009D44: D3D94095 18000115
	v_accvgpr_read_b32 v20, a150                               // 000000009D4C: D3D84014 18000196
	v_accvgpr_read_b32 v21, a151                               // 000000009D54: D3D84015 18000197
	v_pk_mul_f32 v[20:21], v[22:23], v[20:21]                  // 000000009D5C: D3B14014 18022916
	v_accvgpr_write_b32 a150, v20                              // 000000009D64: D3D94096 18000114
	v_accvgpr_write_b32 a151, v21                              // 000000009D6C: D3D94097 18000115
	v_accvgpr_read_b32 v20, a152                               // 000000009D74: D3D84014 18000198
	v_accvgpr_read_b32 v21, a153                               // 000000009D7C: D3D84015 18000199
	v_pk_mul_f32 v[20:21], v[22:23], v[20:21]                  // 000000009D84: D3B14014 18022916
	v_accvgpr_write_b32 a152, v20                              // 000000009D8C: D3D94098 18000114
	v_accvgpr_write_b32 a153, v21                              // 000000009D94: D3D94099 18000115
	v_accvgpr_read_b32 v20, a154                               // 000000009D9C: D3D84014 1800019A
	v_accvgpr_read_b32 v21, a155                               // 000000009DA4: D3D84015 1800019B
	v_pk_mul_f32 v[20:21], v[22:23], v[20:21]                  // 000000009DAC: D3B14014 18022916
	v_accvgpr_write_b32 a154, v20                              // 000000009DB4: D3D9409A 18000114
	v_accvgpr_write_b32 a155, v21                              // 000000009DBC: D3D9409B 18000115
	v_accvgpr_read_b32 v20, a156                               // 000000009DC4: D3D84014 1800019C
	v_accvgpr_read_b32 v21, a157                               // 000000009DCC: D3D84015 1800019D
	v_pk_mul_f32 v[20:21], v[22:23], v[20:21]                  // 000000009DD4: D3B14014 18022916
	v_accvgpr_write_b32 a156, v20                              // 000000009DDC: D3D9409C 18000114
	v_accvgpr_write_b32 a157, v21                              // 000000009DE4: D3D9409D 18000115
	v_accvgpr_read_b32 v20, a158                               // 000000009DEC: D3D84014 1800019E
	v_accvgpr_read_b32 v21, a159                               // 000000009DF4: D3D84015 1800019F
	v_pk_mul_f32 v[20:21], v[22:23], v[20:21]                  // 000000009DFC: D3B14014 18022916
	v_accvgpr_write_b32 a158, v20                              // 000000009E04: D3D9409E 18000114
	v_accvgpr_write_b32 a159, v21                              // 000000009E0C: D3D9409F 18000115
	v_accvgpr_read_b32 v20, a160                               // 000000009E14: D3D84014 180001A0
	v_accvgpr_read_b32 v21, a161                               // 000000009E1C: D3D84015 180001A1
	v_pk_mul_f32 v[20:21], v[22:23], v[20:21]                  // 000000009E24: D3B14014 18022916
	v_accvgpr_write_b32 a160, v20                              // 000000009E2C: D3D940A0 18000114
	v_accvgpr_write_b32 a161, v21                              // 000000009E34: D3D940A1 18000115
	v_accvgpr_read_b32 v20, a162                               // 000000009E3C: D3D84014 180001A2
	v_accvgpr_read_b32 v21, a163                               // 000000009E44: D3D84015 180001A3
	v_pk_mul_f32 v[20:21], v[22:23], v[20:21]                  // 000000009E4C: D3B14014 18022916
	v_accvgpr_write_b32 a162, v20                              // 000000009E54: D3D940A2 18000114
	v_accvgpr_write_b32 a163, v21                              // 000000009E5C: D3D940A3 18000115
	v_accvgpr_read_b32 v20, a164                               // 000000009E64: D3D84014 180001A4
	v_accvgpr_read_b32 v21, a165                               // 000000009E6C: D3D84015 180001A5
	v_pk_mul_f32 v[20:21], v[22:23], v[20:21]                  // 000000009E74: D3B14014 18022916
	v_accvgpr_write_b32 a164, v20                              // 000000009E7C: D3D940A4 18000114
	v_accvgpr_write_b32 a165, v21                              // 000000009E84: D3D940A5 18000115
	v_accvgpr_read_b32 v20, a166                               // 000000009E8C: D3D84014 180001A6
	v_accvgpr_read_b32 v21, a167                               // 000000009E94: D3D84015 180001A7
	v_pk_mul_f32 v[20:21], v[22:23], v[20:21]                  // 000000009E9C: D3B14014 18022916
	v_accvgpr_write_b32 a166, v20                              // 000000009EA4: D3D940A6 18000114
	v_accvgpr_write_b32 a167, v21                              // 000000009EAC: D3D940A7 18000115
	v_accvgpr_read_b32 v20, a168                               // 000000009EB4: D3D84014 180001A8
	v_accvgpr_read_b32 v21, a169                               // 000000009EBC: D3D84015 180001A9
	v_pk_mul_f32 v[20:21], v[22:23], v[20:21]                  // 000000009EC4: D3B14014 18022916
	v_accvgpr_write_b32 a168, v20                              // 000000009ECC: D3D940A8 18000114
	v_accvgpr_write_b32 a169, v21                              // 000000009ED4: D3D940A9 18000115
	v_accvgpr_read_b32 v20, a170                               // 000000009EDC: D3D84014 180001AA
	v_accvgpr_read_b32 v21, a171                               // 000000009EE4: D3D84015 180001AB
	v_pk_mul_f32 v[20:21], v[22:23], v[20:21]                  // 000000009EEC: D3B14014 18022916
	v_accvgpr_write_b32 a170, v20                              // 000000009EF4: D3D940AA 18000114
	v_accvgpr_write_b32 a171, v21                              // 000000009EFC: D3D940AB 18000115
	s_waitcnt lgkmcnt(0)                                       // 000000009F04: BF8CC07F
	v_mov_b32_e32 v25, 0xff800000                              // 000000009F08: 7E3202FF FF800000
	s_and_b32 s56, s48, 0xff                                   // 000000009F10: 8638FF30 000000FF
	v_mov_b32_e32 v24, s56                                     // 000000009F18: 7E300238
	v_lshrrev_b32_e32 v20, 4, v0                               // 000000009F1C: 20280084
	v_mul_i32_i24_e32 v20, 4, v20                              // 000000009F20: 0C282884
	v_add_u32_e32 v21, 1, v20                                  // 000000009F24: 682A2881
	v_add_u32_e32 v22, 2, v20                                  // 000000009F28: 682C2882
	v_add_u32_e32 v23, 3, v20                                  // 000000009F2C: 682E2883
	v_cmp_lt_u32_e64 s[38:39], v20, v24                        // 000000009F30: D0C90026 00023114
	v_add_u32_e32 v20, 16, v20                                 // 000000009F38: 68282890
	s_nop 0                                                    // 000000009F3C: BF800000
	v_cndmask_b32_e64 v48, v25, v48, s[38:39]                  // 000000009F40: D1000030 009A6119
	v_cmp_lt_u32_e64 s[38:39], v21, v24                        // 000000009F48: D0C90026 00023115
	v_add_u32_e32 v21, 16, v21                                 // 000000009F50: 682A2A90
	s_nop 0                                                    // 000000009F54: BF800000
	v_cndmask_b32_e64 v49, v25, v49, s[38:39]                  // 000000009F58: D1000031 009A6319
	v_cmp_lt_u32_e64 s[38:39], v22, v24                        // 000000009F60: D0C90026 00023116
	v_add_u32_e32 v22, 16, v22                                 // 000000009F68: 682C2C90
	s_nop 0                                                    // 000000009F6C: BF800000
	v_cndmask_b32_e64 v50, v25, v50, s[38:39]                  // 000000009F70: D1000032 009A6519
	v_cmp_lt_u32_e64 s[38:39], v23, v24                        // 000000009F78: D0C90026 00023117
	v_add_u32_e32 v23, 16, v23                                 // 000000009F80: 682E2E90
	s_nop 0                                                    // 000000009F84: BF800000
	v_cndmask_b32_e64 v51, v25, v51, s[38:39]                  // 000000009F88: D1000033 009A6719
	v_cmp_lt_u32_e64 s[38:39], v20, v24                        // 000000009F90: D0C90026 00023114
	v_add_u32_e32 v20, 16, v20                                 // 000000009F98: 68282890
	s_nop 0                                                    // 000000009F9C: BF800000
	v_cndmask_b32_e64 v52, v25, v52, s[38:39]                  // 000000009FA0: D1000034 009A6919
	v_cmp_lt_u32_e64 s[38:39], v21, v24                        // 000000009FA8: D0C90026 00023115
	v_add_u32_e32 v21, 16, v21                                 // 000000009FB0: 682A2A90
	s_nop 0                                                    // 000000009FB4: BF800000
	v_cndmask_b32_e64 v53, v25, v53, s[38:39]                  // 000000009FB8: D1000035 009A6B19
	v_cmp_lt_u32_e64 s[38:39], v22, v24                        // 000000009FC0: D0C90026 00023116
	v_add_u32_e32 v22, 16, v22                                 // 000000009FC8: 682C2C90
	s_nop 0                                                    // 000000009FCC: BF800000
	v_cndmask_b32_e64 v54, v25, v54, s[38:39]                  // 000000009FD0: D1000036 009A6D19
	v_cmp_lt_u32_e64 s[38:39], v23, v24                        // 000000009FD8: D0C90026 00023117
	v_add_u32_e32 v23, 16, v23                                 // 000000009FE0: 682E2E90
	s_nop 0                                                    // 000000009FE4: BF800000
	v_cndmask_b32_e64 v55, v25, v55, s[38:39]                  // 000000009FE8: D1000037 009A6F19
	v_mfma_f32_16x16x32_fp8_fp8 v[56:59], a[72:73], v[40:41], v[56:59]// 000000009FF0: D3F30038 0CE25148
	ds_read_b128 a[104:107], v7 offset:45312                   // 000000009FF8: DBFEB100 68000007
	ds_read_b128 a[108:111], v7 offset:46336                   // 00000000A000: DBFEB500 6C000007
	v_mfma_f32_16x16x32_fp8_fp8 v[60:63], a[74:75], v[40:41], v[60:63]// 00000000A008: D3F3003C 0CF2514A
	v_mfma_f32_16x16x32_fp8_fp8 v[64:67], a[76:77], v[40:41], v[64:67]// 00000000A010: D3F30040 0D02514C
	v_mfma_f32_16x16x32_fp8_fp8 v[68:71], a[78:79], v[40:41], v[68:71]// 00000000A018: D3F30044 0D12514E
	v_mfma_f32_16x16x32_fp8_fp8 v[72:75], a[80:81], v[40:41], v[72:75]// 00000000A020: D3F30048 0D225150
	ds_read_b128 a[112:115], v7 offset:47360                   // 00000000A028: DBFEB900 70000007
	ds_read_b128 a[116:119], v7 offset:48384                   // 00000000A030: DBFEBD00 74000007
	v_mfma_f32_16x16x32_fp8_fp8 v[76:79], a[82:83], v[40:41], v[76:79]// 00000000A038: D3F3004C 0D325152
	v_mfma_f32_16x16x32_fp8_fp8 v[80:83], a[84:85], v[40:41], v[80:83]// 00000000A040: D3F30050 0D425154
	v_mfma_f32_16x16x32_fp8_fp8 v[84:87], a[86:87], v[40:41], v[84:87]// 00000000A048: D3F30054 0D525156
	v_mfma_f32_16x16x32_fp8_fp8 v[88:91], a[88:89], v[40:41], v[88:91]// 00000000A050: D3F30058 0D625158
	ds_read_b128 a[120:123], v7 offset:49408                   // 00000000A058: DBFEC100 78000007
	ds_read_b128 a[124:127], v7 offset:50432                   // 00000000A060: DBFEC500 7C000007
	v_mfma_f32_16x16x32_fp8_fp8 v[92:95], a[90:91], v[40:41], v[92:95]// 00000000A068: D3F3005C 0D72515A
	v_mfma_f32_16x16x32_fp8_fp8 v[96:99], a[92:93], v[40:41], v[96:99]// 00000000A070: D3F30060 0D82515C
	v_mfma_f32_16x16x32_fp8_fp8 v[100:103], a[94:95], v[40:41], v[100:103]// 00000000A078: D3F30064 0D92515E
	v_mfma_f32_16x16x32_fp8_fp8 v[104:107], a[96:97], v[40:41], v[104:107]// 00000000A080: D3F30068 0DA25160
	ds_read_b128 a[128:131], v7 offset:51456                   // 00000000A088: DBFEC900 80000007
	ds_read_b128 a[132:135], v7 offset:52480                   // 00000000A090: DBFECD00 84000007
	v_mfma_f32_16x16x32_fp8_fp8 v[108:111], a[98:99], v[40:41], v[108:111]// 00000000A098: D3F3006C 0DB25162
	v_mfma_f32_16x16x32_fp8_fp8 v[112:115], a[100:101], v[40:41], v[112:115]// 00000000A0A0: D3F30070 0DC25164
	v_mfma_f32_16x16x32_fp8_fp8 v[116:119], a[102:103], v[40:41], v[116:119]// 00000000A0A8: D3F30074 0DD25166
	s_waitcnt lgkmcnt(4)                                       // 00000000A0B0: BF8CC47F
	v_mfma_f32_16x16x32_fp8_fp8 v[120:123], a[104:105], v[40:41], v[120:123]// 00000000A0B4: D3F30078 0DE25168
	v_max3_f32 v24, v48, v49, v48                              // 00000000A0BC: D1D30018 04C26330
	v_max3_f32 v24, v50, v51, v24                              // 00000000A0C4: D1D30018 04626732
	v_max3_f32 v24, v52, v53, v24                              // 00000000A0CC: D1D30018 04626B34
	v_max3_f32 v24, v54, v55, v24                              // 00000000A0D4: D1D30018 04626F36
	ds_write_b32 v3, v24 offset:54528                          // 00000000A0DC: D81AD500 00001803
	v_mfma_f32_16x16x32_fp8_fp8 v[124:127], a[106:107], v[40:41], v[124:127]// 00000000A0E4: D3F3007C 0DF2516A
	v_mfma_f32_16x16x32_fp8_fp8 v[128:131], a[108:109], v[40:41], v[128:131]// 00000000A0EC: D3F30080 0E02516C
	v_mfma_f32_16x16x32_fp8_fp8 v[132:135], a[110:111], v[40:41], v[132:135]// 00000000A0F4: D3F30084 0E12516E
	v_mfma_f32_16x16x32_fp8_fp8 v[136:139], a[112:113], v[40:41], v[136:139]// 00000000A0FC: D3F30088 0E225170
	v_mfma_f32_16x16x32_fp8_fp8 v[140:143], a[114:115], v[40:41], v[140:143]// 00000000A104: D3F3008C 0E325172
	v_mfma_f32_16x16x32_fp8_fp8 v[144:147], a[116:117], v[40:41], v[144:147]// 00000000A10C: D3F30090 0E425174
	v_mfma_f32_16x16x32_fp8_fp8 v[148:151], a[118:119], v[40:41], v[148:151]// 00000000A114: D3F30094 0E525176
	s_waitcnt lgkmcnt(0)                                       // 00000000A11C: BF8CC07F
	v_mfma_f32_16x16x32_fp8_fp8 v[152:155], a[120:121], v[40:41], v[152:155]// 00000000A120: D3F30098 0E625178
	s_waitcnt lgkmcnt(0)                                       // 00000000A128: BF8CC07F
	ds_read_b32 v20, v2 offset:54528                           // 00000000A12C: D86CD500 14000002
	ds_read_b32 v21, v2 offset:54592                           // 00000000A134: D86CD540 15000002
	v_mfma_f32_16x16x32_fp8_fp8 a[144:147], a[122:123], v[40:41], a[144:147]// 00000000A13C: D3F38090 0E42517A
	ds_read_b32 v22, v2 offset:54656                           // 00000000A144: D86CD580 16000002
	ds_read_b32 v23, v2 offset:54720                           // 00000000A14C: D86CD5C0 17000002
	v_mfma_f32_16x16x32_fp8_fp8 a[148:151], a[124:125], v[40:41], a[148:151]// 00000000A154: D3F38094 0E52517C
	v_mfma_f32_16x16x32_fp8_fp8 a[152:155], a[126:127], v[40:41], a[152:155]// 00000000A15C: D3F38098 0E62517E
	v_mfma_f32_16x16x32_fp8_fp8 a[156:159], a[128:129], v[40:41], a[156:159]// 00000000A164: D3F3809C 0E725180
	v_mfma_f32_16x16x32_fp8_fp8 a[160:163], a[130:131], v[40:41], a[160:163]// 00000000A16C: D3F380A0 0E825182
	v_mfma_f32_16x16x32_fp8_fp8 a[164:167], a[132:133], v[40:41], a[164:167]// 00000000A174: D3F380A4 0E925184
	v_mfma_f32_16x16x32_fp8_fp8 a[168:171], a[134:135], v[40:41], a[168:171]// 00000000A17C: D3F380A8 0EA25186
	s_waitcnt lgkmcnt(0)                                       // 00000000A184: BF8CC07F
	v_max3_f32 v24, v20, v21, v24                              // 00000000A188: D1D30018 04622B14
	v_max3_f32 v24, v22, v23, v24                              // 00000000A190: D1D30018 04622F16
	v_mov_b32_e32 v25, 0xff7fffff                              // 00000000A198: 7E3202FF FF7FFFFF
	v_cmp_eq_u32_e64 s[38:39], v25, v13                        // 00000000A1A0: D0CA0026 00021B19
	v_max_f32_e32 v20, v24, v13                                // 00000000A1A8: 16281B18
	v_sub_f32_e32 v17, v13, v20                                // 00000000A1AC: 0422290D
	v_cndmask_b32_e64 v17, v17, 0, s[38:39]                    // 00000000A1B0: D1000011 00990111
	v_mov_b32_e32 v13, v20                                     // 00000000A1B8: 7E1A0314
	v_mul_f32_e32 v21, s5, v20                                 // 00000000A1BC: 0A2A2805
	v_mul_f32_e32 v17, s5, v17                                 // 00000000A1C0: 0A222205
	v_exp_f32_e32 v17, v17                                     // 00000000A1C4: 7E224111
	v_fma_f32 v48, v48, s5, -v21                               // 00000000A1C8: D1CB0030 84540B30
	v_fma_f32 v49, v49, s5, -v21                               // 00000000A1D0: D1CB0031 84540B31
	v_fma_f32 v50, v50, s5, -v21                               // 00000000A1D8: D1CB0032 84540B32
	v_fma_f32 v51, v51, s5, -v21                               // 00000000A1E0: D1CB0033 84540B33
	v_fma_f32 v52, v52, s5, -v21                               // 00000000A1E8: D1CB0034 84540B34
	v_fma_f32 v53, v53, s5, -v21                               // 00000000A1F0: D1CB0035 84540B35
	v_fma_f32 v54, v54, s5, -v21                               // 00000000A1F8: D1CB0036 84540B36
	v_fma_f32 v55, v55, s5, -v21                               // 00000000A200: D1CB0037 84540B37
	v_exp_f32_e32 v48, v48                                     // 00000000A208: 7E604130
	v_exp_f32_e32 v49, v49                                     // 00000000A20C: 7E624131
	v_exp_f32_e32 v50, v50                                     // 00000000A210: 7E644132
	v_exp_f32_e32 v51, v51                                     // 00000000A214: 7E664133
	v_exp_f32_e32 v52, v52                                     // 00000000A218: 7E684134
	v_exp_f32_e32 v53, v53                                     // 00000000A21C: 7E6A4135
	v_exp_f32_e32 v54, v54                                     // 00000000A220: 7E6C4136
	v_exp_f32_e32 v55, v55                                     // 00000000A224: 7E6E4137
	v_mul_f32_e32 v15, v17, v15                                // 00000000A228: 0A1E1F11
	v_mov_b32_e32 v22, v48                                     // 00000000A22C: 7E2C0330
	v_add_f32_e32 v22, v49, v22                                // 00000000A230: 022C2D31
	v_add_f32_e32 v22, v50, v22                                // 00000000A234: 022C2D32
	v_add_f32_e32 v22, v51, v22                                // 00000000A238: 022C2D33
	v_add_f32_e32 v22, v52, v22                                // 00000000A23C: 022C2D34
	v_add_f32_e32 v22, v53, v22                                // 00000000A240: 022C2D35
	v_add_f32_e32 v22, v54, v22                                // 00000000A244: 022C2D36
	v_add_f32_e32 v22, v55, v22                                // 00000000A248: 022C2D37
	v_add_f32_e32 v15, v22, v15                                // 00000000A24C: 021E1F16
	v_cvt_pk_fp8_f32 v42, v48, v49                             // 00000000A250: D2A2002A 00026330
	v_cvt_pk_fp8_f32 v42, v50, v51 op_sel:[0,0,1]              // 00000000A258: D2A2402A 00026732
	v_cvt_pk_fp8_f32 v43, v52, v53                             // 00000000A260: D2A2002B 00026B34
	v_cvt_pk_fp8_f32 v43, v54, v55 op_sel:[0,0,1]              // 00000000A268: D2A2402B 00026F36
	s_nop 0                                                    // 00000000A270: BF800000
	v_mov_b32_e32 v22, v17                                     // 00000000A274: 7E2C0311
	v_mov_b32_e32 v23, v17                                     // 00000000A278: 7E2E0311
	v_pk_mul_f32 v[156:157], v[22:23], v[156:157]              // 00000000A27C: D3B1409C 18033916
	v_pk_mul_f32 v[158:159], v[22:23], v[158:159]              // 00000000A284: D3B1409E 18033D16
	v_pk_mul_f32 v[160:161], v[22:23], v[160:161]              // 00000000A28C: D3B140A0 18034116
	v_pk_mul_f32 v[162:163], v[22:23], v[162:163]              // 00000000A294: D3B140A2 18034516
	v_pk_mul_f32 v[164:165], v[22:23], v[164:165]              // 00000000A29C: D3B140A4 18034916
	v_pk_mul_f32 v[166:167], v[22:23], v[166:167]              // 00000000A2A4: D3B140A6 18034D16
	v_pk_mul_f32 v[168:169], v[22:23], v[168:169]              // 00000000A2AC: D3B140A8 18035116
	v_pk_mul_f32 v[170:171], v[22:23], v[170:171]              // 00000000A2B4: D3B140AA 18035516
	v_pk_mul_f32 v[172:173], v[22:23], v[172:173]              // 00000000A2BC: D3B140AC 18035916
	v_pk_mul_f32 v[174:175], v[22:23], v[174:175]              // 00000000A2C4: D3B140AE 18035D16
	v_pk_mul_f32 v[176:177], v[22:23], v[176:177]              // 00000000A2CC: D3B140B0 18036116
	v_pk_mul_f32 v[178:179], v[22:23], v[178:179]              // 00000000A2D4: D3B140B2 18036516
	v_pk_mul_f32 v[180:181], v[22:23], v[180:181]              // 00000000A2DC: D3B140B4 18036916
	v_pk_mul_f32 v[182:183], v[22:23], v[182:183]              // 00000000A2E4: D3B140B6 18036D16
	v_pk_mul_f32 v[184:185], v[22:23], v[184:185]              // 00000000A2EC: D3B140B8 18037116
	v_pk_mul_f32 v[186:187], v[22:23], v[186:187]              // 00000000A2F4: D3B140BA 18037516
	v_pk_mul_f32 v[188:189], v[22:23], v[188:189]              // 00000000A2FC: D3B140BC 18037916
	v_pk_mul_f32 v[190:191], v[22:23], v[190:191]              // 00000000A304: D3B140BE 18037D16
	v_pk_mul_f32 v[192:193], v[22:23], v[192:193]              // 00000000A30C: D3B140C0 18038116
	v_pk_mul_f32 v[194:195], v[22:23], v[194:195]              // 00000000A314: D3B140C2 18038516
	v_pk_mul_f32 v[196:197], v[22:23], v[196:197]              // 00000000A31C: D3B140C4 18038916
	v_pk_mul_f32 v[198:199], v[22:23], v[198:199]              // 00000000A324: D3B140C6 18038D16
	v_pk_mul_f32 v[200:201], v[22:23], v[200:201]              // 00000000A32C: D3B140C8 18039116
	v_pk_mul_f32 v[202:203], v[22:23], v[202:203]              // 00000000A334: D3B140CA 18039516
	v_pk_mul_f32 v[204:205], v[22:23], v[204:205]              // 00000000A33C: D3B140CC 18039916
	v_pk_mul_f32 v[206:207], v[22:23], v[206:207]              // 00000000A344: D3B140CE 18039D16
	v_pk_mul_f32 v[208:209], v[22:23], v[208:209]              // 00000000A34C: D3B140D0 1803A116
	v_pk_mul_f32 v[210:211], v[22:23], v[210:211]              // 00000000A354: D3B140D2 1803A516
	v_pk_mul_f32 v[212:213], v[22:23], v[212:213]              // 00000000A35C: D3B140D4 1803A916
	v_pk_mul_f32 v[214:215], v[22:23], v[214:215]              // 00000000A364: D3B140D6 1803AD16
	v_pk_mul_f32 v[216:217], v[22:23], v[216:217]              // 00000000A36C: D3B140D8 1803B116
	v_pk_mul_f32 v[218:219], v[22:23], v[218:219]              // 00000000A374: D3B140DA 1803B516
	v_pk_mul_f32 v[220:221], v[22:23], v[220:221]              // 00000000A37C: D3B140DC 1803B916
	v_pk_mul_f32 v[222:223], v[22:23], v[222:223]              // 00000000A384: D3B140DE 1803BD16
	v_pk_mul_f32 v[224:225], v[22:23], v[224:225]              // 00000000A38C: D3B140E0 1803C116
	v_pk_mul_f32 v[226:227], v[22:23], v[226:227]              // 00000000A394: D3B140E2 1803C516
	v_pk_mul_f32 v[228:229], v[22:23], v[228:229]              // 00000000A39C: D3B140E4 1803C916
	v_pk_mul_f32 v[230:231], v[22:23], v[230:231]              // 00000000A3A4: D3B140E6 1803CD16
	v_pk_mul_f32 v[232:233], v[22:23], v[232:233]              // 00000000A3AC: D3B140E8 1803D116
	v_pk_mul_f32 v[234:235], v[22:23], v[234:235]              // 00000000A3B4: D3B140EA 1803D516
	v_pk_mul_f32 v[236:237], v[22:23], v[236:237]              // 00000000A3BC: D3B140EC 1803D916
	v_pk_mul_f32 v[238:239], v[22:23], v[238:239]              // 00000000A3C4: D3B140EE 1803DD16
	v_pk_mul_f32 v[240:241], v[22:23], v[240:241]              // 00000000A3CC: D3B140F0 1803E116
	v_pk_mul_f32 v[242:243], v[22:23], v[242:243]              // 00000000A3D4: D3B140F2 1803E516
	v_pk_mul_f32 v[244:245], v[22:23], v[244:245]              // 00000000A3DC: D3B140F4 1803E916
	v_pk_mul_f32 v[246:247], v[22:23], v[246:247]              // 00000000A3E4: D3B140F6 1803ED16
	v_pk_mul_f32 v[248:249], v[22:23], v[248:249]              // 00000000A3EC: D3B140F8 1803F116
	v_pk_mul_f32 v[250:251], v[22:23], v[250:251]              // 00000000A3F4: D3B140FA 1803F516
	v_pk_mul_f32 v[252:253], v[22:23], v[252:253]              // 00000000A3FC: D3B140FC 1803F916
	v_pk_mul_f32 v[254:255], v[22:23], v[254:255]              // 00000000A404: D3B140FE 1803FD16
	v_accvgpr_read_b32 v20, a172                               // 00000000A40C: D3D84014 180001AC
	v_accvgpr_read_b32 v21, a173                               // 00000000A414: D3D84015 180001AD
	v_pk_mul_f32 v[20:21], v[22:23], v[20:21]                  // 00000000A41C: D3B14014 18022916
	v_accvgpr_write_b32 a172, v20                              // 00000000A424: D3D940AC 18000114
	v_accvgpr_write_b32 a173, v21                              // 00000000A42C: D3D940AD 18000115
	v_accvgpr_read_b32 v20, a174                               // 00000000A434: D3D84014 180001AE
	v_accvgpr_read_b32 v21, a175                               // 00000000A43C: D3D84015 180001AF
	v_pk_mul_f32 v[20:21], v[22:23], v[20:21]                  // 00000000A444: D3B14014 18022916
	v_accvgpr_write_b32 a174, v20                              // 00000000A44C: D3D940AE 18000114
	v_accvgpr_write_b32 a175, v21                              // 00000000A454: D3D940AF 18000115
	v_accvgpr_read_b32 v20, a176                               // 00000000A45C: D3D84014 180001B0
	v_accvgpr_read_b32 v21, a177                               // 00000000A464: D3D84015 180001B1
	v_pk_mul_f32 v[20:21], v[22:23], v[20:21]                  // 00000000A46C: D3B14014 18022916
	v_accvgpr_write_b32 a176, v20                              // 00000000A474: D3D940B0 18000114
	v_accvgpr_write_b32 a177, v21                              // 00000000A47C: D3D940B1 18000115
	v_accvgpr_read_b32 v20, a178                               // 00000000A484: D3D84014 180001B2
	v_accvgpr_read_b32 v21, a179                               // 00000000A48C: D3D84015 180001B3
	v_pk_mul_f32 v[20:21], v[22:23], v[20:21]                  // 00000000A494: D3B14014 18022916
	v_accvgpr_write_b32 a178, v20                              // 00000000A49C: D3D940B2 18000114
	v_accvgpr_write_b32 a179, v21                              // 00000000A4A4: D3D940B3 18000115
	v_accvgpr_read_b32 v20, a180                               // 00000000A4AC: D3D84014 180001B4
	v_accvgpr_read_b32 v21, a181                               // 00000000A4B4: D3D84015 180001B5
	v_pk_mul_f32 v[20:21], v[22:23], v[20:21]                  // 00000000A4BC: D3B14014 18022916
	v_accvgpr_write_b32 a180, v20                              // 00000000A4C4: D3D940B4 18000114
	v_accvgpr_write_b32 a181, v21                              // 00000000A4CC: D3D940B5 18000115
	v_accvgpr_read_b32 v20, a182                               // 00000000A4D4: D3D84014 180001B6
	v_accvgpr_read_b32 v21, a183                               // 00000000A4DC: D3D84015 180001B7
	v_pk_mul_f32 v[20:21], v[22:23], v[20:21]                  // 00000000A4E4: D3B14014 18022916
	v_accvgpr_write_b32 a182, v20                              // 00000000A4EC: D3D940B6 18000114
	v_accvgpr_write_b32 a183, v21                              // 00000000A4F4: D3D940B7 18000115
	v_accvgpr_read_b32 v20, a184                               // 00000000A4FC: D3D84014 180001B8
	v_accvgpr_read_b32 v21, a185                               // 00000000A504: D3D84015 180001B9
	v_pk_mul_f32 v[20:21], v[22:23], v[20:21]                  // 00000000A50C: D3B14014 18022916
	v_accvgpr_write_b32 a184, v20                              // 00000000A514: D3D940B8 18000114
	v_accvgpr_write_b32 a185, v21                              // 00000000A51C: D3D940B9 18000115
	v_accvgpr_read_b32 v20, a186                               // 00000000A524: D3D84014 180001BA
	v_accvgpr_read_b32 v21, a187                               // 00000000A52C: D3D84015 180001BB
	v_pk_mul_f32 v[20:21], v[22:23], v[20:21]                  // 00000000A534: D3B14014 18022916
	v_accvgpr_write_b32 a186, v20                              // 00000000A53C: D3D940BA 18000114
	v_accvgpr_write_b32 a187, v21                              // 00000000A544: D3D940BB 18000115
	v_accvgpr_read_b32 v20, a188                               // 00000000A54C: D3D84014 180001BC
	v_accvgpr_read_b32 v21, a189                               // 00000000A554: D3D84015 180001BD
	v_pk_mul_f32 v[20:21], v[22:23], v[20:21]                  // 00000000A55C: D3B14014 18022916
	v_accvgpr_write_b32 a188, v20                              // 00000000A564: D3D940BC 18000114
	v_accvgpr_write_b32 a189, v21                              // 00000000A56C: D3D940BD 18000115
	v_accvgpr_read_b32 v20, a190                               // 00000000A574: D3D84014 180001BE
	v_accvgpr_read_b32 v21, a191                               // 00000000A57C: D3D84015 180001BF
	v_pk_mul_f32 v[20:21], v[22:23], v[20:21]                  // 00000000A584: D3B14014 18022916
	v_accvgpr_write_b32 a190, v20                              // 00000000A58C: D3D940BE 18000114
	v_accvgpr_write_b32 a191, v21                              // 00000000A594: D3D940BF 18000115
	v_accvgpr_read_b32 v20, a192                               // 00000000A59C: D3D84014 180001C0
	v_accvgpr_read_b32 v21, a193                               // 00000000A5A4: D3D84015 180001C1
	v_pk_mul_f32 v[20:21], v[22:23], v[20:21]                  // 00000000A5AC: D3B14014 18022916
	v_accvgpr_write_b32 a192, v20                              // 00000000A5B4: D3D940C0 18000114
	v_accvgpr_write_b32 a193, v21                              // 00000000A5BC: D3D940C1 18000115
	v_accvgpr_read_b32 v20, a194                               // 00000000A5C4: D3D84014 180001C2
	v_accvgpr_read_b32 v21, a195                               // 00000000A5CC: D3D84015 180001C3
	v_pk_mul_f32 v[20:21], v[22:23], v[20:21]                  // 00000000A5D4: D3B14014 18022916
	v_accvgpr_write_b32 a194, v20                              // 00000000A5DC: D3D940C2 18000114
	v_accvgpr_write_b32 a195, v21                              // 00000000A5E4: D3D940C3 18000115
	v_accvgpr_read_b32 v20, a196                               // 00000000A5EC: D3D84014 180001C4
	v_accvgpr_read_b32 v21, a197                               // 00000000A5F4: D3D84015 180001C5
	v_pk_mul_f32 v[20:21], v[22:23], v[20:21]                  // 00000000A5FC: D3B14014 18022916
	v_accvgpr_write_b32 a196, v20                              // 00000000A604: D3D940C4 18000114
	v_accvgpr_write_b32 a197, v21                              // 00000000A60C: D3D940C5 18000115
	v_accvgpr_read_b32 v20, a198                               // 00000000A614: D3D84014 180001C6
	v_accvgpr_read_b32 v21, a199                               // 00000000A61C: D3D84015 180001C7
	v_pk_mul_f32 v[20:21], v[22:23], v[20:21]                  // 00000000A624: D3B14014 18022916
	v_accvgpr_write_b32 a198, v20                              // 00000000A62C: D3D940C6 18000114
	v_accvgpr_write_b32 a199, v21                              // 00000000A634: D3D940C7 18000115
	s_waitcnt vmcnt(18) lgkmcnt(0)                             // 00000000A63C: BF8C4072
	s_barrier                                                  // 00000000A640: BF8A0000
	v_mfma_f32_16x16x32_fp8_fp8 v[156:159], a[72:73], v[42:43], v[156:159]// 00000000A644: D3F3009C 0E725548
	v_mfma_f32_16x16x32_fp8_fp8 v[160:163], a[74:75], v[42:43], v[160:163]// 00000000A64C: D3F300A0 0E82554A
	v_mfma_f32_16x16x32_fp8_fp8 v[164:167], a[76:77], v[42:43], v[164:167]// 00000000A654: D3F300A4 0E92554C
	v_mfma_f32_16x16x32_fp8_fp8 v[168:171], a[78:79], v[42:43], v[168:171]// 00000000A65C: D3F300A8 0EA2554E
	v_mfma_f32_16x16x32_fp8_fp8 v[172:175], a[80:81], v[42:43], v[172:175]// 00000000A664: D3F300AC 0EB25550
	v_mfma_f32_16x16x32_fp8_fp8 v[176:179], a[82:83], v[42:43], v[176:179]// 00000000A66C: D3F300B0 0EC25552
	v_mfma_f32_16x16x32_fp8_fp8 v[180:183], a[84:85], v[42:43], v[180:183]// 00000000A674: D3F300B4 0ED25554
	v_mfma_f32_16x16x32_fp8_fp8 v[184:187], a[86:87], v[42:43], v[184:187]// 00000000A67C: D3F300B8 0EE25556
	v_mfma_f32_16x16x32_fp8_fp8 v[188:191], a[88:89], v[42:43], v[188:191]// 00000000A684: D3F300BC 0EF25558
	v_mfma_f32_16x16x32_fp8_fp8 v[192:195], a[90:91], v[42:43], v[192:195]// 00000000A68C: D3F300C0 0F02555A
	v_mfma_f32_16x16x32_fp8_fp8 v[196:199], a[92:93], v[42:43], v[196:199]// 00000000A694: D3F300C4 0F12555C
	v_mfma_f32_16x16x32_fp8_fp8 v[200:203], a[94:95], v[42:43], v[200:203]// 00000000A69C: D3F300C8 0F22555E
	v_mfma_f32_16x16x32_fp8_fp8 v[204:207], a[96:97], v[42:43], v[204:207]// 00000000A6A4: D3F300CC 0F325560
	v_mfma_f32_16x16x32_fp8_fp8 v[208:211], a[98:99], v[42:43], v[208:211]// 00000000A6AC: D3F300D0 0F425562
	v_mfma_f32_16x16x32_fp8_fp8 v[212:215], a[100:101], v[42:43], v[212:215]// 00000000A6B4: D3F300D4 0F525564
	v_mfma_f32_16x16x32_fp8_fp8 v[216:219], a[102:103], v[42:43], v[216:219]// 00000000A6BC: D3F300D8 0F625566
	v_mfma_f32_16x16x32_fp8_fp8 v[220:223], a[104:105], v[42:43], v[220:223]// 00000000A6C4: D3F300DC 0F725568
	v_mfma_f32_16x16x32_fp8_fp8 v[224:227], a[106:107], v[42:43], v[224:227]// 00000000A6CC: D3F300E0 0F82556A
	v_mfma_f32_16x16x32_fp8_fp8 v[228:231], a[108:109], v[42:43], v[228:231]// 00000000A6D4: D3F300E4 0F92556C
	v_mfma_f32_16x16x32_fp8_fp8 v[232:235], a[110:111], v[42:43], v[232:235]// 00000000A6DC: D3F300E8 0FA2556E
	v_mfma_f32_16x16x32_fp8_fp8 v[236:239], a[112:113], v[42:43], v[236:239]// 00000000A6E4: D3F300EC 0FB25570
	v_mfma_f32_16x16x32_fp8_fp8 v[240:243], a[114:115], v[42:43], v[240:243]// 00000000A6EC: D3F300F0 0FC25572
	v_mfma_f32_16x16x32_fp8_fp8 v[244:247], a[116:117], v[42:43], v[244:247]// 00000000A6F4: D3F300F4 0FD25574
	v_mfma_f32_16x16x32_fp8_fp8 v[248:251], a[118:119], v[42:43], v[248:251]// 00000000A6FC: D3F300F8 0FE25576
	v_mfma_f32_16x16x32_fp8_fp8 v[252:255], a[120:121], v[42:43], v[252:255]// 00000000A704: D3F300FC 0FF25578
	v_mfma_f32_16x16x32_fp8_fp8 a[172:175], a[122:123], v[42:43], a[172:175]// 00000000A70C: D3F380AC 0EB2557A
	v_mfma_f32_16x16x32_fp8_fp8 a[176:179], a[124:125], v[42:43], a[176:179]// 00000000A714: D3F380B0 0EC2557C
	v_mfma_f32_16x16x32_fp8_fp8 a[180:183], a[126:127], v[42:43], a[180:183]// 00000000A71C: D3F380B4 0ED2557E
	v_mfma_f32_16x16x32_fp8_fp8 a[184:187], a[128:129], v[42:43], a[184:187]// 00000000A724: D3F380B8 0EE25580
	v_mfma_f32_16x16x32_fp8_fp8 a[188:191], a[130:131], v[42:43], a[188:191]// 00000000A72C: D3F380BC 0EF25582
	v_mfma_f32_16x16x32_fp8_fp8 a[192:195], a[132:133], v[42:43], a[192:195]// 00000000A734: D3F380C0 0F025584
	v_mfma_f32_16x16x32_fp8_fp8 a[196:199], a[134:135], v[42:43], a[196:199]// 00000000A73C: D3F380C4 0F125586
	s_nop 8                                                    // 00000000A744: BF800008
	s_branch label_2113                                        // 00000000A748: BF820000

000000000000a74c <label_2113>:
	ds_write_b32 v3, v14 offset:55552                          // 00000000A74C: D81AD900 00000E03
	ds_write_b32 v3, v15 offset:56576                          // 00000000A754: D81ADD00 00000F03
	s_waitcnt lgkmcnt(0)                                       // 00000000A75C: BF8CC07F
	ds_read_b32 v20, v2 offset:55552                           // 00000000A760: D86CD900 14000002
	ds_read_b32 v21, v2 offset:55616                           // 00000000A768: D86CD940 15000002
	ds_read_b32 v22, v2 offset:55680                           // 00000000A770: D86CD980 16000002
	ds_read_b32 v23, v2 offset:55744                           // 00000000A778: D86CD9C0 17000002
	ds_read_b32 v24, v2 offset:56576                           // 00000000A780: D86CDD00 18000002
	ds_read_b32 v25, v2 offset:56640                           // 00000000A788: D86CDD40 19000002
	ds_read_b32 v26, v2 offset:56704                           // 00000000A790: D86CDD80 1A000002
	ds_read_b32 v27, v2 offset:56768                           // 00000000A798: D86CDDC0 1B000002
	s_waitcnt lgkmcnt(0)                                       // 00000000A7A0: BF8CC07F
	v_mov_b32_e32 v14, 0                                       // 00000000A7A4: 7E1C0280
	v_mov_b32_e32 v15, 0                                       // 00000000A7A8: 7E1E0280
	v_add_f32_e32 v14, v20, v14                                // 00000000A7AC: 021C1D14
	v_add_f32_e32 v15, v24, v15                                // 00000000A7B0: 021E1F18
	v_add_f32_e32 v14, v21, v14                                // 00000000A7B4: 021C1D15
	v_add_f32_e32 v15, v25, v15                                // 00000000A7B8: 021E1F19
	v_add_f32_e32 v14, v22, v14                                // 00000000A7BC: 021C1D16
	v_add_f32_e32 v15, v26, v15                                // 00000000A7C0: 021E1F1A
	v_add_f32_e32 v14, v23, v14                                // 00000000A7C4: 021C1D17
	v_add_f32_e32 v15, v27, v15                                // 00000000A7C8: 021E1F1B
	v_mov_b32_e32 v20, 0                                       // 00000000A7CC: 7E280280
	v_cmp_eq_u32_e64 s[38:39], v20, v14                        // 00000000A7D0: D0CA0026 00021D14
	v_cmp_eq_u32_e64 s[40:41], v20, v15                        // 00000000A7D8: D0CA0028 00021F14
	v_mul_f32_e64 v20, v12, s64                                // 00000000A7E0: D1050014 0000810C
	v_mul_f32_e64 v22, v13, s64                                // 00000000A7E8: D1050016 0000810D
	v_log_f32_e32 v21, v14                                     // 00000000A7F0: 7E2A430E
	v_log_f32_e32 v23, v15                                     // 00000000A7F4: 7E2E430F
	v_cndmask_b32_e64 v14, v14, 1.0, s[38:39]                  // 00000000A7F8: D100000E 0099E50E
	v_cndmask_b32_e64 v15, v15, 1.0, s[40:41]                  // 00000000A800: D100000F 00A1E50F
	s_nop 1                                                    // 00000000A808: BF800001
	v_rcp_f32_e32 v14, v14                                     // 00000000A80C: 7E1C450E
	v_rcp_f32_e32 v15, v15                                     // 00000000A810: 7E1E450F
	s_nop 1                                                    // 00000000A814: BF800001
	v_fma_f32 v24, v21, s63, v20                               // 00000000A818: D1CB0018 04507F15
	v_fma_f32 v25, v23, s63, v22                               // 00000000A820: D1CB0019 04587F17
	v_mul_f32_e32 v56, v14, v56                                // 00000000A828: 0A70710E
	v_mul_f32_e32 v57, v14, v57                                // 00000000A82C: 0A72730E
	v_mul_f32_e32 v58, v14, v58                                // 00000000A830: 0A74750E
	v_mul_f32_e32 v59, v14, v59                                // 00000000A834: 0A76770E
	v_mul_f32_e32 v60, v14, v60                                // 00000000A838: 0A78790E
	v_mul_f32_e32 v61, v14, v61                                // 00000000A83C: 0A7A7B0E
	v_mul_f32_e32 v62, v14, v62                                // 00000000A840: 0A7C7D0E
	v_mul_f32_e32 v63, v14, v63                                // 00000000A844: 0A7E7F0E
	v_mul_f32_e32 v64, v14, v64                                // 00000000A848: 0A80810E
	v_mul_f32_e32 v65, v14, v65                                // 00000000A84C: 0A82830E
	v_mul_f32_e32 v66, v14, v66                                // 00000000A850: 0A84850E
	v_mul_f32_e32 v67, v14, v67                                // 00000000A854: 0A86870E
	v_mul_f32_e32 v68, v14, v68                                // 00000000A858: 0A88890E
	v_mul_f32_e32 v69, v14, v69                                // 00000000A85C: 0A8A8B0E
	v_mul_f32_e32 v70, v14, v70                                // 00000000A860: 0A8C8D0E
	v_mul_f32_e32 v71, v14, v71                                // 00000000A864: 0A8E8F0E
	v_mul_f32_e32 v72, v14, v72                                // 00000000A868: 0A90910E
	v_mul_f32_e32 v73, v14, v73                                // 00000000A86C: 0A92930E
	v_mul_f32_e32 v74, v14, v74                                // 00000000A870: 0A94950E
	v_mul_f32_e32 v75, v14, v75                                // 00000000A874: 0A96970E
	v_mul_f32_e32 v76, v14, v76                                // 00000000A878: 0A98990E
	v_mul_f32_e32 v77, v14, v77                                // 00000000A87C: 0A9A9B0E
	v_mul_f32_e32 v78, v14, v78                                // 00000000A880: 0A9C9D0E
	v_mul_f32_e32 v79, v14, v79                                // 00000000A884: 0A9E9F0E
	v_mul_f32_e32 v80, v14, v80                                // 00000000A888: 0AA0A10E
	v_mul_f32_e32 v81, v14, v81                                // 00000000A88C: 0AA2A30E
	v_mul_f32_e32 v82, v14, v82                                // 00000000A890: 0AA4A50E
	v_mul_f32_e32 v83, v14, v83                                // 00000000A894: 0AA6A70E
	v_mul_f32_e32 v84, v14, v84                                // 00000000A898: 0AA8A90E
	v_mul_f32_e32 v85, v14, v85                                // 00000000A89C: 0AAAAB0E
	v_mul_f32_e32 v86, v14, v86                                // 00000000A8A0: 0AACAD0E
	v_mul_f32_e32 v87, v14, v87                                // 00000000A8A4: 0AAEAF0E
	v_mul_f32_e32 v88, v14, v88                                // 00000000A8A8: 0AB0B10E
	v_mul_f32_e32 v89, v14, v89                                // 00000000A8AC: 0AB2B30E
	v_mul_f32_e32 v90, v14, v90                                // 00000000A8B0: 0AB4B50E
	v_mul_f32_e32 v91, v14, v91                                // 00000000A8B4: 0AB6B70E
	v_mul_f32_e32 v92, v14, v92                                // 00000000A8B8: 0AB8B90E
	v_mul_f32_e32 v93, v14, v93                                // 00000000A8BC: 0ABABB0E
	v_mul_f32_e32 v94, v14, v94                                // 00000000A8C0: 0ABCBD0E
	v_mul_f32_e32 v95, v14, v95                                // 00000000A8C4: 0ABEBF0E
	v_mul_f32_e32 v96, v14, v96                                // 00000000A8C8: 0AC0C10E
	v_mul_f32_e32 v97, v14, v97                                // 00000000A8CC: 0AC2C30E
	v_mul_f32_e32 v98, v14, v98                                // 00000000A8D0: 0AC4C50E
	v_mul_f32_e32 v99, v14, v99                                // 00000000A8D4: 0AC6C70E
	v_mul_f32_e32 v100, v14, v100                              // 00000000A8D8: 0AC8C90E
	v_mul_f32_e32 v101, v14, v101                              // 00000000A8DC: 0ACACB0E
	v_mul_f32_e32 v102, v14, v102                              // 00000000A8E0: 0ACCCD0E
	v_mul_f32_e32 v103, v14, v103                              // 00000000A8E4: 0ACECF0E
	v_mul_f32_e32 v104, v14, v104                              // 00000000A8E8: 0AD0D10E
	v_mul_f32_e32 v105, v14, v105                              // 00000000A8EC: 0AD2D30E
	v_mul_f32_e32 v106, v14, v106                              // 00000000A8F0: 0AD4D50E
	v_mul_f32_e32 v107, v14, v107                              // 00000000A8F4: 0AD6D70E
	v_mul_f32_e32 v108, v14, v108                              // 00000000A8F8: 0AD8D90E
	v_mul_f32_e32 v109, v14, v109                              // 00000000A8FC: 0ADADB0E
	v_mul_f32_e32 v110, v14, v110                              // 00000000A900: 0ADCDD0E
	v_mul_f32_e32 v111, v14, v111                              // 00000000A904: 0ADEDF0E
	v_mul_f32_e32 v112, v14, v112                              // 00000000A908: 0AE0E10E
	v_mul_f32_e32 v113, v14, v113                              // 00000000A90C: 0AE2E30E
	v_mul_f32_e32 v114, v14, v114                              // 00000000A910: 0AE4E50E
	v_mul_f32_e32 v115, v14, v115                              // 00000000A914: 0AE6E70E
	v_mul_f32_e32 v116, v14, v116                              // 00000000A918: 0AE8E90E
	v_mul_f32_e32 v117, v14, v117                              // 00000000A91C: 0AEAEB0E
	v_mul_f32_e32 v118, v14, v118                              // 00000000A920: 0AECED0E
	v_mul_f32_e32 v119, v14, v119                              // 00000000A924: 0AEEEF0E
	v_mul_f32_e32 v120, v14, v120                              // 00000000A928: 0AF0F10E
	v_mul_f32_e32 v121, v14, v121                              // 00000000A92C: 0AF2F30E
	v_mul_f32_e32 v122, v14, v122                              // 00000000A930: 0AF4F50E
	v_mul_f32_e32 v123, v14, v123                              // 00000000A934: 0AF6F70E
	v_mul_f32_e32 v124, v14, v124                              // 00000000A938: 0AF8F90E
	v_mul_f32_e32 v125, v14, v125                              // 00000000A93C: 0AFAFB0E
	v_mul_f32_e32 v126, v14, v126                              // 00000000A940: 0AFCFD0E
	v_mul_f32_e32 v127, v14, v127                              // 00000000A944: 0AFEFF0E
	v_mul_f32_e32 v128, v14, v128                              // 00000000A948: 0B01010E
	v_mul_f32_e32 v129, v14, v129                              // 00000000A94C: 0B03030E
	v_mul_f32_e32 v130, v14, v130                              // 00000000A950: 0B05050E
	v_mul_f32_e32 v131, v14, v131                              // 00000000A954: 0B07070E
	v_mul_f32_e32 v132, v14, v132                              // 00000000A958: 0B09090E
	v_mul_f32_e32 v133, v14, v133                              // 00000000A95C: 0B0B0B0E
	v_mul_f32_e32 v134, v14, v134                              // 00000000A960: 0B0D0D0E
	v_mul_f32_e32 v135, v14, v135                              // 00000000A964: 0B0F0F0E
	v_mul_f32_e32 v136, v14, v136                              // 00000000A968: 0B11110E
	v_mul_f32_e32 v137, v14, v137                              // 00000000A96C: 0B13130E
	v_mul_f32_e32 v138, v14, v138                              // 00000000A970: 0B15150E
	v_mul_f32_e32 v139, v14, v139                              // 00000000A974: 0B17170E
	v_mul_f32_e32 v140, v14, v140                              // 00000000A978: 0B19190E
	v_mul_f32_e32 v141, v14, v141                              // 00000000A97C: 0B1B1B0E
	v_mul_f32_e32 v142, v14, v142                              // 00000000A980: 0B1D1D0E
	v_mul_f32_e32 v143, v14, v143                              // 00000000A984: 0B1F1F0E
	v_mul_f32_e32 v144, v14, v144                              // 00000000A988: 0B21210E
	v_mul_f32_e32 v145, v14, v145                              // 00000000A98C: 0B23230E
	v_mul_f32_e32 v146, v14, v146                              // 00000000A990: 0B25250E
	v_mul_f32_e32 v147, v14, v147                              // 00000000A994: 0B27270E
	v_mul_f32_e32 v148, v14, v148                              // 00000000A998: 0B29290E
	v_mul_f32_e32 v149, v14, v149                              // 00000000A99C: 0B2B2B0E
	v_mul_f32_e32 v150, v14, v150                              // 00000000A9A0: 0B2D2D0E
	v_mul_f32_e32 v151, v14, v151                              // 00000000A9A4: 0B2F2F0E
	v_mul_f32_e32 v152, v14, v152                              // 00000000A9A8: 0B31310E
	v_mul_f32_e32 v153, v14, v153                              // 00000000A9AC: 0B33330E
	v_mul_f32_e32 v154, v14, v154                              // 00000000A9B0: 0B35350E
	v_mul_f32_e32 v155, v14, v155                              // 00000000A9B4: 0B37370E
	v_accvgpr_read_b32 v20, a144                               // 00000000A9B8: D3D84014 18000190
	v_accvgpr_read_b32 v21, a145                               // 00000000A9C0: D3D84015 18000191
	v_mul_f32_e32 v20, v14, v20                                // 00000000A9C8: 0A28290E
	v_mul_f32_e32 v21, v14, v21                                // 00000000A9CC: 0A2A2B0E
	v_accvgpr_write_b32 a144, v20                              // 00000000A9D0: D3D94090 18000114
	v_accvgpr_write_b32 a145, v21                              // 00000000A9D8: D3D94091 18000115
	v_accvgpr_read_b32 v20, a146                               // 00000000A9E0: D3D84014 18000192
	v_accvgpr_read_b32 v21, a147                               // 00000000A9E8: D3D84015 18000193
	v_mul_f32_e32 v20, v14, v20                                // 00000000A9F0: 0A28290E
	v_mul_f32_e32 v21, v14, v21                                // 00000000A9F4: 0A2A2B0E
	v_accvgpr_write_b32 a146, v20                              // 00000000A9F8: D3D94092 18000114
	v_accvgpr_write_b32 a147, v21                              // 00000000AA00: D3D94093 18000115
	v_accvgpr_read_b32 v20, a148                               // 00000000AA08: D3D84014 18000194
	v_accvgpr_read_b32 v21, a149                               // 00000000AA10: D3D84015 18000195
	v_mul_f32_e32 v20, v14, v20                                // 00000000AA18: 0A28290E
	v_mul_f32_e32 v21, v14, v21                                // 00000000AA1C: 0A2A2B0E
	v_accvgpr_write_b32 a148, v20                              // 00000000AA20: D3D94094 18000114
	v_accvgpr_write_b32 a149, v21                              // 00000000AA28: D3D94095 18000115
	v_accvgpr_read_b32 v20, a150                               // 00000000AA30: D3D84014 18000196
	v_accvgpr_read_b32 v21, a151                               // 00000000AA38: D3D84015 18000197
	v_mul_f32_e32 v20, v14, v20                                // 00000000AA40: 0A28290E
	v_mul_f32_e32 v21, v14, v21                                // 00000000AA44: 0A2A2B0E
	v_accvgpr_write_b32 a150, v20                              // 00000000AA48: D3D94096 18000114
	v_accvgpr_write_b32 a151, v21                              // 00000000AA50: D3D94097 18000115
	v_accvgpr_read_b32 v20, a152                               // 00000000AA58: D3D84014 18000198
	v_accvgpr_read_b32 v21, a153                               // 00000000AA60: D3D84015 18000199
	v_mul_f32_e32 v20, v14, v20                                // 00000000AA68: 0A28290E
	v_mul_f32_e32 v21, v14, v21                                // 00000000AA6C: 0A2A2B0E
	v_accvgpr_write_b32 a152, v20                              // 00000000AA70: D3D94098 18000114
	v_accvgpr_write_b32 a153, v21                              // 00000000AA78: D3D94099 18000115
	v_accvgpr_read_b32 v20, a154                               // 00000000AA80: D3D84014 1800019A
	v_accvgpr_read_b32 v21, a155                               // 00000000AA88: D3D84015 1800019B
	v_mul_f32_e32 v20, v14, v20                                // 00000000AA90: 0A28290E
	v_mul_f32_e32 v21, v14, v21                                // 00000000AA94: 0A2A2B0E
	v_accvgpr_write_b32 a154, v20                              // 00000000AA98: D3D9409A 18000114
	v_accvgpr_write_b32 a155, v21                              // 00000000AAA0: D3D9409B 18000115
	v_accvgpr_read_b32 v20, a156                               // 00000000AAA8: D3D84014 1800019C
	v_accvgpr_read_b32 v21, a157                               // 00000000AAB0: D3D84015 1800019D
	v_mul_f32_e32 v20, v14, v20                                // 00000000AAB8: 0A28290E
	v_mul_f32_e32 v21, v14, v21                                // 00000000AABC: 0A2A2B0E
	v_accvgpr_write_b32 a156, v20                              // 00000000AAC0: D3D9409C 18000114
	v_accvgpr_write_b32 a157, v21                              // 00000000AAC8: D3D9409D 18000115
	v_accvgpr_read_b32 v20, a158                               // 00000000AAD0: D3D84014 1800019E
	v_accvgpr_read_b32 v21, a159                               // 00000000AAD8: D3D84015 1800019F
	v_mul_f32_e32 v20, v14, v20                                // 00000000AAE0: 0A28290E
	v_mul_f32_e32 v21, v14, v21                                // 00000000AAE4: 0A2A2B0E
	v_accvgpr_write_b32 a158, v20                              // 00000000AAE8: D3D9409E 18000114
	v_accvgpr_write_b32 a159, v21                              // 00000000AAF0: D3D9409F 18000115
	v_accvgpr_read_b32 v20, a160                               // 00000000AAF8: D3D84014 180001A0
	v_accvgpr_read_b32 v21, a161                               // 00000000AB00: D3D84015 180001A1
	v_mul_f32_e32 v20, v14, v20                                // 00000000AB08: 0A28290E
	v_mul_f32_e32 v21, v14, v21                                // 00000000AB0C: 0A2A2B0E
	v_accvgpr_write_b32 a160, v20                              // 00000000AB10: D3D940A0 18000114
	v_accvgpr_write_b32 a161, v21                              // 00000000AB18: D3D940A1 18000115
	v_accvgpr_read_b32 v20, a162                               // 00000000AB20: D3D84014 180001A2
	v_accvgpr_read_b32 v21, a163                               // 00000000AB28: D3D84015 180001A3
	v_mul_f32_e32 v20, v14, v20                                // 00000000AB30: 0A28290E
	v_mul_f32_e32 v21, v14, v21                                // 00000000AB34: 0A2A2B0E
	v_accvgpr_write_b32 a162, v20                              // 00000000AB38: D3D940A2 18000114
	v_accvgpr_write_b32 a163, v21                              // 00000000AB40: D3D940A3 18000115
	v_accvgpr_read_b32 v20, a164                               // 00000000AB48: D3D84014 180001A4
	v_accvgpr_read_b32 v21, a165                               // 00000000AB50: D3D84015 180001A5
	v_mul_f32_e32 v20, v14, v20                                // 00000000AB58: 0A28290E
	v_mul_f32_e32 v21, v14, v21                                // 00000000AB5C: 0A2A2B0E
	v_accvgpr_write_b32 a164, v20                              // 00000000AB60: D3D940A4 18000114
	v_accvgpr_write_b32 a165, v21                              // 00000000AB68: D3D940A5 18000115
	v_accvgpr_read_b32 v20, a166                               // 00000000AB70: D3D84014 180001A6
	v_accvgpr_read_b32 v21, a167                               // 00000000AB78: D3D84015 180001A7
	v_mul_f32_e32 v20, v14, v20                                // 00000000AB80: 0A28290E
	v_mul_f32_e32 v21, v14, v21                                // 00000000AB84: 0A2A2B0E
	v_accvgpr_write_b32 a166, v20                              // 00000000AB88: D3D940A6 18000114
	v_accvgpr_write_b32 a167, v21                              // 00000000AB90: D3D940A7 18000115
	v_accvgpr_read_b32 v20, a168                               // 00000000AB98: D3D84014 180001A8
	v_accvgpr_read_b32 v21, a169                               // 00000000ABA0: D3D84015 180001A9
	v_mul_f32_e32 v20, v14, v20                                // 00000000ABA8: 0A28290E
	v_mul_f32_e32 v21, v14, v21                                // 00000000ABAC: 0A2A2B0E
	v_accvgpr_write_b32 a168, v20                              // 00000000ABB0: D3D940A8 18000114
	v_accvgpr_write_b32 a169, v21                              // 00000000ABB8: D3D940A9 18000115
	v_accvgpr_read_b32 v20, a170                               // 00000000ABC0: D3D84014 180001AA
	v_accvgpr_read_b32 v21, a171                               // 00000000ABC8: D3D84015 180001AB
	v_mul_f32_e32 v20, v14, v20                                // 00000000ABD0: 0A28290E
	v_mul_f32_e32 v21, v14, v21                                // 00000000ABD4: 0A2A2B0E
	v_accvgpr_write_b32 a170, v20                              // 00000000ABD8: D3D940AA 18000114
	v_accvgpr_write_b32 a171, v21                              // 00000000ABE0: D3D940AB 18000115
	v_mul_f32_e32 v156, v15, v156                              // 00000000ABE8: 0B39390F
	v_mul_f32_e32 v157, v15, v157                              // 00000000ABEC: 0B3B3B0F
	v_mul_f32_e32 v158, v15, v158                              // 00000000ABF0: 0B3D3D0F
	v_mul_f32_e32 v159, v15, v159                              // 00000000ABF4: 0B3F3F0F
	v_mul_f32_e32 v160, v15, v160                              // 00000000ABF8: 0B41410F
	v_mul_f32_e32 v161, v15, v161                              // 00000000ABFC: 0B43430F
	v_mul_f32_e32 v162, v15, v162                              // 00000000AC00: 0B45450F
	v_mul_f32_e32 v163, v15, v163                              // 00000000AC04: 0B47470F
	v_mul_f32_e32 v164, v15, v164                              // 00000000AC08: 0B49490F
	v_mul_f32_e32 v165, v15, v165                              // 00000000AC0C: 0B4B4B0F
	v_mul_f32_e32 v166, v15, v166                              // 00000000AC10: 0B4D4D0F
	v_mul_f32_e32 v167, v15, v167                              // 00000000AC14: 0B4F4F0F
	v_mul_f32_e32 v168, v15, v168                              // 00000000AC18: 0B51510F
	v_mul_f32_e32 v169, v15, v169                              // 00000000AC1C: 0B53530F
	v_mul_f32_e32 v170, v15, v170                              // 00000000AC20: 0B55550F
	v_mul_f32_e32 v171, v15, v171                              // 00000000AC24: 0B57570F
	v_mul_f32_e32 v172, v15, v172                              // 00000000AC28: 0B59590F
	v_mul_f32_e32 v173, v15, v173                              // 00000000AC2C: 0B5B5B0F
	v_mul_f32_e32 v174, v15, v174                              // 00000000AC30: 0B5D5D0F
	v_mul_f32_e32 v175, v15, v175                              // 00000000AC34: 0B5F5F0F
	v_mul_f32_e32 v176, v15, v176                              // 00000000AC38: 0B61610F
	v_mul_f32_e32 v177, v15, v177                              // 00000000AC3C: 0B63630F
	v_mul_f32_e32 v178, v15, v178                              // 00000000AC40: 0B65650F
	v_mul_f32_e32 v179, v15, v179                              // 00000000AC44: 0B67670F
	v_mul_f32_e32 v180, v15, v180                              // 00000000AC48: 0B69690F
	v_mul_f32_e32 v181, v15, v181                              // 00000000AC4C: 0B6B6B0F
	v_mul_f32_e32 v182, v15, v182                              // 00000000AC50: 0B6D6D0F
	v_mul_f32_e32 v183, v15, v183                              // 00000000AC54: 0B6F6F0F
	v_mul_f32_e32 v184, v15, v184                              // 00000000AC58: 0B71710F
	v_mul_f32_e32 v185, v15, v185                              // 00000000AC5C: 0B73730F
	v_mul_f32_e32 v186, v15, v186                              // 00000000AC60: 0B75750F
	v_mul_f32_e32 v187, v15, v187                              // 00000000AC64: 0B77770F
	v_mul_f32_e32 v188, v15, v188                              // 00000000AC68: 0B79790F
	v_mul_f32_e32 v189, v15, v189                              // 00000000AC6C: 0B7B7B0F
	v_mul_f32_e32 v190, v15, v190                              // 00000000AC70: 0B7D7D0F
	v_mul_f32_e32 v191, v15, v191                              // 00000000AC74: 0B7F7F0F
	v_mul_f32_e32 v192, v15, v192                              // 00000000AC78: 0B81810F
	v_mul_f32_e32 v193, v15, v193                              // 00000000AC7C: 0B83830F
	v_mul_f32_e32 v194, v15, v194                              // 00000000AC80: 0B85850F
	v_mul_f32_e32 v195, v15, v195                              // 00000000AC84: 0B87870F
	v_mul_f32_e32 v196, v15, v196                              // 00000000AC88: 0B89890F
	v_mul_f32_e32 v197, v15, v197                              // 00000000AC8C: 0B8B8B0F
	v_mul_f32_e32 v198, v15, v198                              // 00000000AC90: 0B8D8D0F
	v_mul_f32_e32 v199, v15, v199                              // 00000000AC94: 0B8F8F0F
	v_mul_f32_e32 v200, v15, v200                              // 00000000AC98: 0B91910F
	v_mul_f32_e32 v201, v15, v201                              // 00000000AC9C: 0B93930F
	v_mul_f32_e32 v202, v15, v202                              // 00000000ACA0: 0B95950F
	v_mul_f32_e32 v203, v15, v203                              // 00000000ACA4: 0B97970F
	v_mul_f32_e32 v204, v15, v204                              // 00000000ACA8: 0B99990F
	v_mul_f32_e32 v205, v15, v205                              // 00000000ACAC: 0B9B9B0F
	v_mul_f32_e32 v206, v15, v206                              // 00000000ACB0: 0B9D9D0F
	v_mul_f32_e32 v207, v15, v207                              // 00000000ACB4: 0B9F9F0F
	v_mul_f32_e32 v208, v15, v208                              // 00000000ACB8: 0BA1A10F
	v_mul_f32_e32 v209, v15, v209                              // 00000000ACBC: 0BA3A30F
	v_mul_f32_e32 v210, v15, v210                              // 00000000ACC0: 0BA5A50F
	v_mul_f32_e32 v211, v15, v211                              // 00000000ACC4: 0BA7A70F
	v_mul_f32_e32 v212, v15, v212                              // 00000000ACC8: 0BA9A90F
	v_mul_f32_e32 v213, v15, v213                              // 00000000ACCC: 0BABAB0F
	v_mul_f32_e32 v214, v15, v214                              // 00000000ACD0: 0BADAD0F
	v_mul_f32_e32 v215, v15, v215                              // 00000000ACD4: 0BAFAF0F
	v_mul_f32_e32 v216, v15, v216                              // 00000000ACD8: 0BB1B10F
	v_mul_f32_e32 v217, v15, v217                              // 00000000ACDC: 0BB3B30F
	v_mul_f32_e32 v218, v15, v218                              // 00000000ACE0: 0BB5B50F
	v_mul_f32_e32 v219, v15, v219                              // 00000000ACE4: 0BB7B70F
	v_mul_f32_e32 v220, v15, v220                              // 00000000ACE8: 0BB9B90F
	v_mul_f32_e32 v221, v15, v221                              // 00000000ACEC: 0BBBBB0F
	v_mul_f32_e32 v222, v15, v222                              // 00000000ACF0: 0BBDBD0F
	v_mul_f32_e32 v223, v15, v223                              // 00000000ACF4: 0BBFBF0F
	v_mul_f32_e32 v224, v15, v224                              // 00000000ACF8: 0BC1C10F
	v_mul_f32_e32 v225, v15, v225                              // 00000000ACFC: 0BC3C30F
	v_mul_f32_e32 v226, v15, v226                              // 00000000AD00: 0BC5C50F
	v_mul_f32_e32 v227, v15, v227                              // 00000000AD04: 0BC7C70F
	v_mul_f32_e32 v228, v15, v228                              // 00000000AD08: 0BC9C90F
	v_mul_f32_e32 v229, v15, v229                              // 00000000AD0C: 0BCBCB0F
	v_mul_f32_e32 v230, v15, v230                              // 00000000AD10: 0BCDCD0F
	v_mul_f32_e32 v231, v15, v231                              // 00000000AD14: 0BCFCF0F
	v_mul_f32_e32 v232, v15, v232                              // 00000000AD18: 0BD1D10F
	v_mul_f32_e32 v233, v15, v233                              // 00000000AD1C: 0BD3D30F
	v_mul_f32_e32 v234, v15, v234                              // 00000000AD20: 0BD5D50F
	v_mul_f32_e32 v235, v15, v235                              // 00000000AD24: 0BD7D70F
	v_mul_f32_e32 v236, v15, v236                              // 00000000AD28: 0BD9D90F
	v_mul_f32_e32 v237, v15, v237                              // 00000000AD2C: 0BDBDB0F
	v_mul_f32_e32 v238, v15, v238                              // 00000000AD30: 0BDDDD0F
	v_mul_f32_e32 v239, v15, v239                              // 00000000AD34: 0BDFDF0F
	v_mul_f32_e32 v240, v15, v240                              // 00000000AD38: 0BE1E10F
	v_mul_f32_e32 v241, v15, v241                              // 00000000AD3C: 0BE3E30F
	v_mul_f32_e32 v242, v15, v242                              // 00000000AD40: 0BE5E50F
	v_mul_f32_e32 v243, v15, v243                              // 00000000AD44: 0BE7E70F
	v_mul_f32_e32 v244, v15, v244                              // 00000000AD48: 0BE9E90F
	v_mul_f32_e32 v245, v15, v245                              // 00000000AD4C: 0BEBEB0F
	v_mul_f32_e32 v246, v15, v246                              // 00000000AD50: 0BEDED0F
	v_mul_f32_e32 v247, v15, v247                              // 00000000AD54: 0BEFEF0F
	v_mul_f32_e32 v248, v15, v248                              // 00000000AD58: 0BF1F10F
	v_mul_f32_e32 v249, v15, v249                              // 00000000AD5C: 0BF3F30F
	v_mul_f32_e32 v250, v15, v250                              // 00000000AD60: 0BF5F50F
	v_mul_f32_e32 v251, v15, v251                              // 00000000AD64: 0BF7F70F
	v_mul_f32_e32 v252, v15, v252                              // 00000000AD68: 0BF9F90F
	v_mul_f32_e32 v253, v15, v253                              // 00000000AD6C: 0BFBFB0F
	v_mul_f32_e32 v254, v15, v254                              // 00000000AD70: 0BFDFD0F
	v_mul_f32_e32 v255, v15, v255                              // 00000000AD74: 0BFFFF0F
	v_accvgpr_read_b32 v20, a172                               // 00000000AD78: D3D84014 180001AC
	v_accvgpr_read_b32 v21, a173                               // 00000000AD80: D3D84015 180001AD
	v_mul_f32_e32 v20, v15, v20                                // 00000000AD88: 0A28290F
	v_mul_f32_e32 v21, v15, v21                                // 00000000AD8C: 0A2A2B0F
	v_accvgpr_write_b32 a172, v20                              // 00000000AD90: D3D940AC 18000114
	v_accvgpr_write_b32 a173, v21                              // 00000000AD98: D3D940AD 18000115
	v_accvgpr_read_b32 v20, a174                               // 00000000ADA0: D3D84014 180001AE
	v_accvgpr_read_b32 v21, a175                               // 00000000ADA8: D3D84015 180001AF
	v_mul_f32_e32 v20, v15, v20                                // 00000000ADB0: 0A28290F
	v_mul_f32_e32 v21, v15, v21                                // 00000000ADB4: 0A2A2B0F
	v_accvgpr_write_b32 a174, v20                              // 00000000ADB8: D3D940AE 18000114
	v_accvgpr_write_b32 a175, v21                              // 00000000ADC0: D3D940AF 18000115
	v_accvgpr_read_b32 v20, a176                               // 00000000ADC8: D3D84014 180001B0
	v_accvgpr_read_b32 v21, a177                               // 00000000ADD0: D3D84015 180001B1
	v_mul_f32_e32 v20, v15, v20                                // 00000000ADD8: 0A28290F
	v_mul_f32_e32 v21, v15, v21                                // 00000000ADDC: 0A2A2B0F
	v_accvgpr_write_b32 a176, v20                              // 00000000ADE0: D3D940B0 18000114
	v_accvgpr_write_b32 a177, v21                              // 00000000ADE8: D3D940B1 18000115
	v_accvgpr_read_b32 v20, a178                               // 00000000ADF0: D3D84014 180001B2
	v_accvgpr_read_b32 v21, a179                               // 00000000ADF8: D3D84015 180001B3
	v_mul_f32_e32 v20, v15, v20                                // 00000000AE00: 0A28290F
	v_mul_f32_e32 v21, v15, v21                                // 00000000AE04: 0A2A2B0F
	v_accvgpr_write_b32 a178, v20                              // 00000000AE08: D3D940B2 18000114
	v_accvgpr_write_b32 a179, v21                              // 00000000AE10: D3D940B3 18000115
	v_accvgpr_read_b32 v20, a180                               // 00000000AE18: D3D84014 180001B4
	v_accvgpr_read_b32 v21, a181                               // 00000000AE20: D3D84015 180001B5
	v_mul_f32_e32 v20, v15, v20                                // 00000000AE28: 0A28290F
	v_mul_f32_e32 v21, v15, v21                                // 00000000AE2C: 0A2A2B0F
	v_accvgpr_write_b32 a180, v20                              // 00000000AE30: D3D940B4 18000114
	v_accvgpr_write_b32 a181, v21                              // 00000000AE38: D3D940B5 18000115
	v_accvgpr_read_b32 v20, a182                               // 00000000AE40: D3D84014 180001B6
	v_accvgpr_read_b32 v21, a183                               // 00000000AE48: D3D84015 180001B7
	v_mul_f32_e32 v20, v15, v20                                // 00000000AE50: 0A28290F
	v_mul_f32_e32 v21, v15, v21                                // 00000000AE54: 0A2A2B0F
	v_accvgpr_write_b32 a182, v20                              // 00000000AE58: D3D940B6 18000114
	v_accvgpr_write_b32 a183, v21                              // 00000000AE60: D3D940B7 18000115
	v_accvgpr_read_b32 v20, a184                               // 00000000AE68: D3D84014 180001B8
	v_accvgpr_read_b32 v21, a185                               // 00000000AE70: D3D84015 180001B9
	v_mul_f32_e32 v20, v15, v20                                // 00000000AE78: 0A28290F
	v_mul_f32_e32 v21, v15, v21                                // 00000000AE7C: 0A2A2B0F
	v_accvgpr_write_b32 a184, v20                              // 00000000AE80: D3D940B8 18000114
	v_accvgpr_write_b32 a185, v21                              // 00000000AE88: D3D940B9 18000115
	v_accvgpr_read_b32 v20, a186                               // 00000000AE90: D3D84014 180001BA
	v_accvgpr_read_b32 v21, a187                               // 00000000AE98: D3D84015 180001BB
	v_mul_f32_e32 v20, v15, v20                                // 00000000AEA0: 0A28290F
	v_mul_f32_e32 v21, v15, v21                                // 00000000AEA4: 0A2A2B0F
	v_accvgpr_write_b32 a186, v20                              // 00000000AEA8: D3D940BA 18000114
	v_accvgpr_write_b32 a187, v21                              // 00000000AEB0: D3D940BB 18000115
	v_accvgpr_read_b32 v20, a188                               // 00000000AEB8: D3D84014 180001BC
	v_accvgpr_read_b32 v21, a189                               // 00000000AEC0: D3D84015 180001BD
	v_mul_f32_e32 v20, v15, v20                                // 00000000AEC8: 0A28290F
	v_mul_f32_e32 v21, v15, v21                                // 00000000AECC: 0A2A2B0F
	v_accvgpr_write_b32 a188, v20                              // 00000000AED0: D3D940BC 18000114
	v_accvgpr_write_b32 a189, v21                              // 00000000AED8: D3D940BD 18000115
	v_accvgpr_read_b32 v20, a190                               // 00000000AEE0: D3D84014 180001BE
	v_accvgpr_read_b32 v21, a191                               // 00000000AEE8: D3D84015 180001BF
	v_mul_f32_e32 v20, v15, v20                                // 00000000AEF0: 0A28290F
	v_mul_f32_e32 v21, v15, v21                                // 00000000AEF4: 0A2A2B0F
	v_accvgpr_write_b32 a190, v20                              // 00000000AEF8: D3D940BE 18000114
	v_accvgpr_write_b32 a191, v21                              // 00000000AF00: D3D940BF 18000115
	v_accvgpr_read_b32 v20, a192                               // 00000000AF08: D3D84014 180001C0
	v_accvgpr_read_b32 v21, a193                               // 00000000AF10: D3D84015 180001C1
	v_mul_f32_e32 v20, v15, v20                                // 00000000AF18: 0A28290F
	v_mul_f32_e32 v21, v15, v21                                // 00000000AF1C: 0A2A2B0F
	v_accvgpr_write_b32 a192, v20                              // 00000000AF20: D3D940C0 18000114
	v_accvgpr_write_b32 a193, v21                              // 00000000AF28: D3D940C1 18000115
	v_accvgpr_read_b32 v20, a194                               // 00000000AF30: D3D84014 180001C2
	v_accvgpr_read_b32 v21, a195                               // 00000000AF38: D3D84015 180001C3
	v_mul_f32_e32 v20, v15, v20                                // 00000000AF40: 0A28290F
	v_mul_f32_e32 v21, v15, v21                                // 00000000AF44: 0A2A2B0F
	v_accvgpr_write_b32 a194, v20                              // 00000000AF48: D3D940C2 18000114
	v_accvgpr_write_b32 a195, v21                              // 00000000AF50: D3D940C3 18000115
	v_accvgpr_read_b32 v20, a196                               // 00000000AF58: D3D84014 180001C4
	v_accvgpr_read_b32 v21, a197                               // 00000000AF60: D3D84015 180001C5
	v_mul_f32_e32 v20, v15, v20                                // 00000000AF68: 0A28290F
	v_mul_f32_e32 v21, v15, v21                                // 00000000AF6C: 0A2A2B0F
	v_accvgpr_write_b32 a196, v20                              // 00000000AF70: D3D940C4 18000114
	v_accvgpr_write_b32 a197, v21                              // 00000000AF78: D3D940C5 18000115
	v_accvgpr_read_b32 v20, a198                               // 00000000AF80: D3D84014 180001C6
	v_accvgpr_read_b32 v21, a199                               // 00000000AF88: D3D84015 180001C7
	v_mul_f32_e32 v20, v15, v20                                // 00000000AF90: 0A28290F
	v_mul_f32_e32 v21, v15, v21                                // 00000000AF94: 0A2A2B0F
	v_accvgpr_write_b32 a198, v20                              // 00000000AF98: D3D940C6 18000114
	v_accvgpr_write_b32 a199, v21                              // 00000000AFA0: D3D940C7 18000115
	s_cmp_lt_i32 s87, 0                                        // 00000000AFA8: BF048057
	s_cbranch_scc0 label_2E1A                                  // 00000000AFAC: BF840AEE
	s_mul_i32 s75, 0x400, s65                                  // 00000000AFB0: 924B41FF 00000400
	s_mul_i32 s56, s78, s75                                    // 00000000AFB8: 92384B4E
	s_add_u32 s88, s56, s88                                    // 00000000AFBC: 80585838
	s_addc_u32 s89, 0, s89                                     // 00000000AFC0: 82595980
	v_and_b32_e32 v20, 7, v0                                   // 00000000AFC4: 26280087
	v_lshlrev_b32_e32 v18, 4, v20                              // 00000000AFC8: 24242884
	v_lshrrev_b32_e32 v20, 3, v0                               // 00000000AFCC: 20280083
	v_mul_i32_i24_e32 v20, 0x400, v20                          // 00000000AFD0: 0C2828FF 00000400
	v_add_u32_e32 v18, v18, v20                                // 00000000AFD8: 68242912
	s_mul_i32 s56, s7, 0x4000                                  // 00000000AFDC: 9238FF07 00004000
	v_add_u32_e64 v18, v18, s56                                // 00000000AFE4: D1340012 00007112
	v_mov_b32_e32 v19, v18                                     // 00000000AFEC: 7E260312
	s_waitcnt vmcnt(0) lgkmcnt(0)                              // 00000000AFF0: BF8C0070
	s_barrier                                                  // 00000000AFF4: BF8A0000
	s_mul_i32 s75, 0x400, s65                                  // 00000000AFF8: 924B41FF 00000400
	s_mul_i32 s76, s67, s75                                    // 00000000B000: 924C4B43
	v_lshrrev_b32_e32 v20, 4, v0                               // 00000000B004: 20280084
	v_mul_i32_i24_e32 v5, 0x48, v20                            // 00000000B008: 0C0A28FF 00000048
	v_and_b32_e32 v20, 15, v0                                  // 00000000B010: 2628008F
	v_mul_i32_i24_e32 v20, 2, v20                              // 00000000B014: 0C282882
	v_add_u32_e32 v5, v20, v5                                  // 00000000B018: 680A0B14
	s_mul_i32 s56, s7, 0x480                                   // 00000000B01C: 9238FF07 00000480
	v_add_u32_e32 v5, s56, v5                                  // 00000000B024: 680A0A38
	v_lshlrev_b32_e32 v5, 2, v5                                // 00000000B028: 240A0A82
	v_lshrrev_b32_e32 v20, 3, v0                               // 00000000B02C: 20280083
	v_mul_i32_i24_e32 v4, 2, v20                               // 00000000B030: 0C082882
	v_and_b32_e32 v20, 7, v0                                   // 00000000B034: 26280087
	v_mul_i32_i24_e32 v20, 36, v20                             // 00000000B038: 0C2828A4
	v_add_u32_e32 v4, v20, v4                                  // 00000000B03C: 68080914
	s_mul_i32 s56, s7, 0x480                                   // 00000000B040: 9238FF07 00000480
	v_add_u32_e32 v4, s56, v4                                  // 00000000B048: 68080838
	v_lshlrev_b32_e32 v4, 2, v4                                // 00000000B04C: 24080882
	v_mov_b32_e32 v29, 0xffff0000                              // 00000000B050: 7E3A02FF FFFF0000
	v_mov_b32_e32 v30, 0x7fff0000                              // 00000000B058: 7E3C02FF 7FFF0000
	v_mov_b32_e32 v31, 0x7fff                                  // 00000000B060: 7E3E02FF 00007FFF
	s_mov_b32 s56, 0                                           // 00000000B068: BEB80080
	v_add_u32_e64 v19, v19, s56                                // 00000000B06C: D1340013 00007113
	v_mov_b32_e32 v24, v56                                     // 00000000B074: 7E300338
	v_mov_b32_e32 v25, v60                                     // 00000000B078: 7E32033C
	v_mov_b32_e32 v26, v64                                     // 00000000B07C: 7E340340
	v_mov_b32_e32 v27, v68                                     // 00000000B080: 7E360344
	v_mul_f32_e32 v24, s43, v24                                // 00000000B084: 0A30302B
	v_mul_f32_e32 v25, s43, v25                                // 00000000B088: 0A32322B
	v_mul_f32_e32 v26, s43, v26                                // 00000000B08C: 0A34342B
	v_mul_f32_e32 v27, s43, v27                                // 00000000B090: 0A36362B
	v_cmp_u_f32_e64 s[38:39], v24, v24                         // 00000000B094: D0480026 00023118
	v_add3_u32 v28, v24, v31, 1                                // 00000000B09C: D1FF001C 02063F18
	v_cndmask_b32_e64 v20, v28, v30, s[38:39]                  // 00000000B0A4: D1000014 009A3D1C
	v_cmp_u_f32_e64 s[38:39], v25, v25                         // 00000000B0AC: D0480026 00023319
	v_add3_u32 v28, v25, v31, 1                                // 00000000B0B4: D1FF001C 02063F19
	v_cndmask_b32_e64 v21, v28, v30, s[38:39]                  // 00000000B0BC: D1000015 009A3D1C
	v_perm_b32 v24, v21, v20, s51                              // 00000000B0C4: D1ED0018 00CE2915
	v_cmp_u_f32_e64 s[38:39], v26, v26                         // 00000000B0CC: D0480026 0002351A
	v_add3_u32 v28, v26, v31, 1                                // 00000000B0D4: D1FF001C 02063F1A
	v_cndmask_b32_e64 v20, v28, v30, s[38:39]                  // 00000000B0DC: D1000014 009A3D1C
	v_cmp_u_f32_e64 s[38:39], v27, v27                         // 00000000B0E4: D0480026 0002371B
	v_add3_u32 v28, v27, v31, 1                                // 00000000B0EC: D1FF001C 02063F1B
	v_cndmask_b32_e64 v21, v28, v30, s[38:39]                  // 00000000B0F4: D1000015 009A3D1C
	v_perm_b32 v25, v21, v20, s51                              // 00000000B0FC: D1ED0019 00CE2915
	ds_write_b64 v5, v[24:25]                                  // 00000000B104: D89A0000 00001805
	v_mov_b32_e32 v24, v57                                     // 00000000B10C: 7E300339
	v_mov_b32_e32 v25, v61                                     // 00000000B110: 7E32033D
	v_mov_b32_e32 v26, v65                                     // 00000000B114: 7E340341
	v_mov_b32_e32 v27, v69                                     // 00000000B118: 7E360345
	v_mul_f32_e32 v24, s43, v24                                // 00000000B11C: 0A30302B
	v_mul_f32_e32 v25, s43, v25                                // 00000000B120: 0A32322B
	v_mul_f32_e32 v26, s43, v26                                // 00000000B124: 0A34342B
	v_mul_f32_e32 v27, s43, v27                                // 00000000B128: 0A36362B
	v_cmp_u_f32_e64 s[38:39], v24, v24                         // 00000000B12C: D0480026 00023118
	v_add3_u32 v28, v24, v31, 1                                // 00000000B134: D1FF001C 02063F18
	v_cndmask_b32_e64 v20, v28, v30, s[38:39]                  // 00000000B13C: D1000014 009A3D1C
	v_cmp_u_f32_e64 s[38:39], v25, v25                         // 00000000B144: D0480026 00023319
	v_add3_u32 v28, v25, v31, 1                                // 00000000B14C: D1FF001C 02063F19
	v_cndmask_b32_e64 v21, v28, v30, s[38:39]                  // 00000000B154: D1000015 009A3D1C
	v_perm_b32 v24, v21, v20, s51                              // 00000000B15C: D1ED0018 00CE2915
	v_cmp_u_f32_e64 s[38:39], v26, v26                         // 00000000B164: D0480026 0002351A
	v_add3_u32 v28, v26, v31, 1                                // 00000000B16C: D1FF001C 02063F1A
	v_cndmask_b32_e64 v20, v28, v30, s[38:39]                  // 00000000B174: D1000014 009A3D1C
	v_cmp_u_f32_e64 s[38:39], v27, v27                         // 00000000B17C: D0480026 0002371B
	v_add3_u32 v28, v27, v31, 1                                // 00000000B184: D1FF001C 02063F1B
	v_cndmask_b32_e64 v21, v28, v30, s[38:39]                  // 00000000B18C: D1000015 009A3D1C
	v_perm_b32 v25, v21, v20, s51                              // 00000000B194: D1ED0019 00CE2915
	ds_write_b64 v5, v[24:25] offset:1152                      // 00000000B19C: D89A0480 00001805
	v_mov_b32_e32 v24, v58                                     // 00000000B1A4: 7E30033A
	v_mov_b32_e32 v25, v62                                     // 00000000B1A8: 7E32033E
	v_mov_b32_e32 v26, v66                                     // 00000000B1AC: 7E340342
	v_mov_b32_e32 v27, v70                                     // 00000000B1B0: 7E360346
	v_mul_f32_e32 v24, s43, v24                                // 00000000B1B4: 0A30302B
	v_mul_f32_e32 v25, s43, v25                                // 00000000B1B8: 0A32322B
	v_mul_f32_e32 v26, s43, v26                                // 00000000B1BC: 0A34342B
	v_mul_f32_e32 v27, s43, v27                                // 00000000B1C0: 0A36362B
	v_cmp_u_f32_e64 s[38:39], v24, v24                         // 00000000B1C4: D0480026 00023118
	v_add3_u32 v28, v24, v31, 1                                // 00000000B1CC: D1FF001C 02063F18
	v_cndmask_b32_e64 v20, v28, v30, s[38:39]                  // 00000000B1D4: D1000014 009A3D1C
	v_cmp_u_f32_e64 s[38:39], v25, v25                         // 00000000B1DC: D0480026 00023319
	v_add3_u32 v28, v25, v31, 1                                // 00000000B1E4: D1FF001C 02063F19
	v_cndmask_b32_e64 v21, v28, v30, s[38:39]                  // 00000000B1EC: D1000015 009A3D1C
	v_perm_b32 v24, v21, v20, s51                              // 00000000B1F4: D1ED0018 00CE2915
	v_cmp_u_f32_e64 s[38:39], v26, v26                         // 00000000B1FC: D0480026 0002351A
	v_add3_u32 v28, v26, v31, 1                                // 00000000B204: D1FF001C 02063F1A
	v_cndmask_b32_e64 v20, v28, v30, s[38:39]                  // 00000000B20C: D1000014 009A3D1C
	v_cmp_u_f32_e64 s[38:39], v27, v27                         // 00000000B214: D0480026 0002371B
	v_add3_u32 v28, v27, v31, 1                                // 00000000B21C: D1FF001C 02063F1B
	v_cndmask_b32_e64 v21, v28, v30, s[38:39]                  // 00000000B224: D1000015 009A3D1C
	v_perm_b32 v25, v21, v20, s51                              // 00000000B22C: D1ED0019 00CE2915
	ds_write_b64 v5, v[24:25] offset:144                       // 00000000B234: D89A0090 00001805
	v_mov_b32_e32 v24, v59                                     // 00000000B23C: 7E30033B
	v_mov_b32_e32 v25, v63                                     // 00000000B240: 7E32033F
	v_mov_b32_e32 v26, v67                                     // 00000000B244: 7E340343
	v_mov_b32_e32 v27, v71                                     // 00000000B248: 7E360347
	v_mul_f32_e32 v24, s43, v24                                // 00000000B24C: 0A30302B
	v_mul_f32_e32 v25, s43, v25                                // 00000000B250: 0A32322B
	v_mul_f32_e32 v26, s43, v26                                // 00000000B254: 0A34342B
	v_mul_f32_e32 v27, s43, v27                                // 00000000B258: 0A36362B
	v_cmp_u_f32_e64 s[38:39], v24, v24                         // 00000000B25C: D0480026 00023118
	v_add3_u32 v28, v24, v31, 1                                // 00000000B264: D1FF001C 02063F18
	v_cndmask_b32_e64 v20, v28, v30, s[38:39]                  // 00000000B26C: D1000014 009A3D1C
	v_cmp_u_f32_e64 s[38:39], v25, v25                         // 00000000B274: D0480026 00023319
	v_add3_u32 v28, v25, v31, 1                                // 00000000B27C: D1FF001C 02063F19
	v_cndmask_b32_e64 v21, v28, v30, s[38:39]                  // 00000000B284: D1000015 009A3D1C
	v_perm_b32 v24, v21, v20, s51                              // 00000000B28C: D1ED0018 00CE2915
	v_cmp_u_f32_e64 s[38:39], v26, v26                         // 00000000B294: D0480026 0002351A
	v_add3_u32 v28, v26, v31, 1                                // 00000000B29C: D1FF001C 02063F1A
	v_cndmask_b32_e64 v20, v28, v30, s[38:39]                  // 00000000B2A4: D1000014 009A3D1C
	v_cmp_u_f32_e64 s[38:39], v27, v27                         // 00000000B2AC: D0480026 0002371B
	v_add3_u32 v28, v27, v31, 1                                // 00000000B2B4: D1FF001C 02063F1B
	v_cndmask_b32_e64 v21, v28, v30, s[38:39]                  // 00000000B2BC: D1000015 009A3D1C
	v_perm_b32 v25, v21, v20, s51                              // 00000000B2C4: D1ED0019 00CE2915
	ds_write_b64 v5, v[24:25] offset:1296                      // 00000000B2CC: D89A0510 00001805
	v_mov_b32_e32 v24, v72                                     // 00000000B2D4: 7E300348
	v_mov_b32_e32 v25, v76                                     // 00000000B2D8: 7E32034C
	v_mov_b32_e32 v26, v80                                     // 00000000B2DC: 7E340350
	v_mov_b32_e32 v27, v84                                     // 00000000B2E0: 7E360354
	v_mul_f32_e32 v24, s43, v24                                // 00000000B2E4: 0A30302B
	v_mul_f32_e32 v25, s43, v25                                // 00000000B2E8: 0A32322B
	v_mul_f32_e32 v26, s43, v26                                // 00000000B2EC: 0A34342B
	v_mul_f32_e32 v27, s43, v27                                // 00000000B2F0: 0A36362B
	v_cmp_u_f32_e64 s[38:39], v24, v24                         // 00000000B2F4: D0480026 00023118
	v_add3_u32 v28, v24, v31, 1                                // 00000000B2FC: D1FF001C 02063F18
	v_cndmask_b32_e64 v20, v28, v30, s[38:39]                  // 00000000B304: D1000014 009A3D1C
	v_cmp_u_f32_e64 s[38:39], v25, v25                         // 00000000B30C: D0480026 00023319
	v_add3_u32 v28, v25, v31, 1                                // 00000000B314: D1FF001C 02063F19
	v_cndmask_b32_e64 v21, v28, v30, s[38:39]                  // 00000000B31C: D1000015 009A3D1C
	v_perm_b32 v24, v21, v20, s51                              // 00000000B324: D1ED0018 00CE2915
	v_cmp_u_f32_e64 s[38:39], v26, v26                         // 00000000B32C: D0480026 0002351A
	v_add3_u32 v28, v26, v31, 1                                // 00000000B334: D1FF001C 02063F1A
	v_cndmask_b32_e64 v20, v28, v30, s[38:39]                  // 00000000B33C: D1000014 009A3D1C
	v_cmp_u_f32_e64 s[38:39], v27, v27                         // 00000000B344: D0480026 0002371B
	v_add3_u32 v28, v27, v31, 1                                // 00000000B34C: D1FF001C 02063F1B
	v_cndmask_b32_e64 v21, v28, v30, s[38:39]                  // 00000000B354: D1000015 009A3D1C
	v_perm_b32 v25, v21, v20, s51                              // 00000000B35C: D1ED0019 00CE2915
	ds_write_b64 v5, v[24:25] offset:2304                      // 00000000B364: D89A0900 00001805
	v_mov_b32_e32 v24, v73                                     // 00000000B36C: 7E300349
	v_mov_b32_e32 v25, v77                                     // 00000000B370: 7E32034D
	v_mov_b32_e32 v26, v81                                     // 00000000B374: 7E340351
	v_mov_b32_e32 v27, v85                                     // 00000000B378: 7E360355
	v_mul_f32_e32 v24, s43, v24                                // 00000000B37C: 0A30302B
	v_mul_f32_e32 v25, s43, v25                                // 00000000B380: 0A32322B
	v_mul_f32_e32 v26, s43, v26                                // 00000000B384: 0A34342B
	v_mul_f32_e32 v27, s43, v27                                // 00000000B388: 0A36362B
	v_cmp_u_f32_e64 s[38:39], v24, v24                         // 00000000B38C: D0480026 00023118
	v_add3_u32 v28, v24, v31, 1                                // 00000000B394: D1FF001C 02063F18
	v_cndmask_b32_e64 v20, v28, v30, s[38:39]                  // 00000000B39C: D1000014 009A3D1C
	v_cmp_u_f32_e64 s[38:39], v25, v25                         // 00000000B3A4: D0480026 00023319
	v_add3_u32 v28, v25, v31, 1                                // 00000000B3AC: D1FF001C 02063F19
	v_cndmask_b32_e64 v21, v28, v30, s[38:39]                  // 00000000B3B4: D1000015 009A3D1C
	v_perm_b32 v24, v21, v20, s51                              // 00000000B3BC: D1ED0018 00CE2915
	v_cmp_u_f32_e64 s[38:39], v26, v26                         // 00000000B3C4: D0480026 0002351A
	v_add3_u32 v28, v26, v31, 1                                // 00000000B3CC: D1FF001C 02063F1A
	v_cndmask_b32_e64 v20, v28, v30, s[38:39]                  // 00000000B3D4: D1000014 009A3D1C
	v_cmp_u_f32_e64 s[38:39], v27, v27                         // 00000000B3DC: D0480026 0002371B
	v_add3_u32 v28, v27, v31, 1                                // 00000000B3E4: D1FF001C 02063F1B
	v_cndmask_b32_e64 v21, v28, v30, s[38:39]                  // 00000000B3EC: D1000015 009A3D1C
	v_perm_b32 v25, v21, v20, s51                              // 00000000B3F4: D1ED0019 00CE2915
	ds_write_b64 v5, v[24:25] offset:3456                      // 00000000B3FC: D89A0D80 00001805
	v_mov_b32_e32 v24, v74                                     // 00000000B404: 7E30034A
	v_mov_b32_e32 v25, v78                                     // 00000000B408: 7E32034E
	v_mov_b32_e32 v26, v82                                     // 00000000B40C: 7E340352
	v_mov_b32_e32 v27, v86                                     // 00000000B410: 7E360356
	v_mul_f32_e32 v24, s43, v24                                // 00000000B414: 0A30302B
	v_mul_f32_e32 v25, s43, v25                                // 00000000B418: 0A32322B
	v_mul_f32_e32 v26, s43, v26                                // 00000000B41C: 0A34342B
	v_mul_f32_e32 v27, s43, v27                                // 00000000B420: 0A36362B
	v_cmp_u_f32_e64 s[38:39], v24, v24                         // 00000000B424: D0480026 00023118
	v_add3_u32 v28, v24, v31, 1                                // 00000000B42C: D1FF001C 02063F18
	v_cndmask_b32_e64 v20, v28, v30, s[38:39]                  // 00000000B434: D1000014 009A3D1C
	v_cmp_u_f32_e64 s[38:39], v25, v25                         // 00000000B43C: D0480026 00023319
	v_add3_u32 v28, v25, v31, 1                                // 00000000B444: D1FF001C 02063F19
	v_cndmask_b32_e64 v21, v28, v30, s[38:39]                  // 00000000B44C: D1000015 009A3D1C
	v_perm_b32 v24, v21, v20, s51                              // 00000000B454: D1ED0018 00CE2915
	v_cmp_u_f32_e64 s[38:39], v26, v26                         // 00000000B45C: D0480026 0002351A
	v_add3_u32 v28, v26, v31, 1                                // 00000000B464: D1FF001C 02063F1A
	v_cndmask_b32_e64 v20, v28, v30, s[38:39]                  // 00000000B46C: D1000014 009A3D1C
	v_cmp_u_f32_e64 s[38:39], v27, v27                         // 00000000B474: D0480026 0002371B
	v_add3_u32 v28, v27, v31, 1                                // 00000000B47C: D1FF001C 02063F1B
	v_cndmask_b32_e64 v21, v28, v30, s[38:39]                  // 00000000B484: D1000015 009A3D1C
	v_perm_b32 v25, v21, v20, s51                              // 00000000B48C: D1ED0019 00CE2915
	ds_write_b64 v5, v[24:25] offset:2448                      // 00000000B494: D89A0990 00001805
	v_mov_b32_e32 v24, v75                                     // 00000000B49C: 7E30034B
	v_mov_b32_e32 v25, v79                                     // 00000000B4A0: 7E32034F
	v_mov_b32_e32 v26, v83                                     // 00000000B4A4: 7E340353
	v_mov_b32_e32 v27, v87                                     // 00000000B4A8: 7E360357
	v_mul_f32_e32 v24, s43, v24                                // 00000000B4AC: 0A30302B
	v_mul_f32_e32 v25, s43, v25                                // 00000000B4B0: 0A32322B
	v_mul_f32_e32 v26, s43, v26                                // 00000000B4B4: 0A34342B
	v_mul_f32_e32 v27, s43, v27                                // 00000000B4B8: 0A36362B
	v_cmp_u_f32_e64 s[38:39], v24, v24                         // 00000000B4BC: D0480026 00023118
	v_add3_u32 v28, v24, v31, 1                                // 00000000B4C4: D1FF001C 02063F18
	v_cndmask_b32_e64 v20, v28, v30, s[38:39]                  // 00000000B4CC: D1000014 009A3D1C
	v_cmp_u_f32_e64 s[38:39], v25, v25                         // 00000000B4D4: D0480026 00023319
	v_add3_u32 v28, v25, v31, 1                                // 00000000B4DC: D1FF001C 02063F19
	v_cndmask_b32_e64 v21, v28, v30, s[38:39]                  // 00000000B4E4: D1000015 009A3D1C
	v_perm_b32 v24, v21, v20, s51                              // 00000000B4EC: D1ED0018 00CE2915
	v_cmp_u_f32_e64 s[38:39], v26, v26                         // 00000000B4F4: D0480026 0002351A
	v_add3_u32 v28, v26, v31, 1                                // 00000000B4FC: D1FF001C 02063F1A
	v_cndmask_b32_e64 v20, v28, v30, s[38:39]                  // 00000000B504: D1000014 009A3D1C
	v_cmp_u_f32_e64 s[38:39], v27, v27                         // 00000000B50C: D0480026 0002371B
	v_add3_u32 v28, v27, v31, 1                                // 00000000B514: D1FF001C 02063F1B
	v_cndmask_b32_e64 v21, v28, v30, s[38:39]                  // 00000000B51C: D1000015 009A3D1C
	v_perm_b32 v25, v21, v20, s51                              // 00000000B524: D1ED0019 00CE2915
	ds_write_b64 v5, v[24:25] offset:3600                      // 00000000B52C: D89A0E10 00001805
	s_waitcnt lgkmcnt(4)                                       // 00000000B534: BF8CC47F
	ds_read_b64 v[56:57], v4                                   // 00000000B538: D8EC0000 38000004
	ds_read_b64 v[60:61], v4 offset:64                         // 00000000B540: D8EC0040 3C000004
	ds_read_b64 v[58:59], v4 offset:1152                       // 00000000B548: D8EC0480 3A000004
	ds_read_b64 v[62:63], v4 offset:1216                       // 00000000B550: D8EC04C0 3E000004
	s_waitcnt lgkmcnt(4)                                       // 00000000B558: BF8CC47F
	ds_read_b64 v[64:65], v4 offset:2304                       // 00000000B55C: D8EC0900 40000004
	ds_read_b64 v[68:69], v4 offset:2368                       // 00000000B564: D8EC0940 44000004
	ds_read_b64 v[66:67], v4 offset:3456                       // 00000000B56C: D8EC0D80 42000004
	ds_read_b64 v[70:71], v4 offset:3520                       // 00000000B574: D8EC0DC0 46000004
	s_waitcnt lgkmcnt(0)                                       // 00000000B57C: BF8CC07F
	v_mov_b32_e32 v18, v19                                     // 00000000B580: 7E240313
	buffer_store_dwordx4 v[56:59], v18, s[88:91], 0 offen      // 00000000B584: E07C1000 80163812
	buffer_store_dwordx4 v[64:67], v18, s[88:91], 0 offen offset:128// 00000000B58C: E07C1080 80164012
	v_add_u32_e32 v18, 0x2000, v18                             // 00000000B594: 682424FF 00002000
	buffer_store_dwordx4 v[60:63], v18, s[88:91], 0 offen      // 00000000B59C: E07C1000 80163C12
	buffer_store_dwordx4 v[68:71], v18, s[88:91], 0 offen offset:128// 00000000B5A4: E07C1080 80164412
	v_add_u32_e32 v18, 0x2000, v18                             // 00000000B5AC: 682424FF 00002000
	v_mov_b32_e32 v24, v88                                     // 00000000B5B4: 7E300358
	v_mov_b32_e32 v25, v92                                     // 00000000B5B8: 7E32035C
	v_mov_b32_e32 v26, v96                                     // 00000000B5BC: 7E340360
	v_mov_b32_e32 v27, v100                                    // 00000000B5C0: 7E360364
	v_mul_f32_e32 v24, s43, v24                                // 00000000B5C4: 0A30302B
	v_mul_f32_e32 v25, s43, v25                                // 00000000B5C8: 0A32322B
	v_mul_f32_e32 v26, s43, v26                                // 00000000B5CC: 0A34342B
	v_mul_f32_e32 v27, s43, v27                                // 00000000B5D0: 0A36362B
	v_cmp_u_f32_e64 s[38:39], v24, v24                         // 00000000B5D4: D0480026 00023118
	v_add3_u32 v28, v24, v31, 1                                // 00000000B5DC: D1FF001C 02063F18
	v_cndmask_b32_e64 v20, v28, v30, s[38:39]                  // 00000000B5E4: D1000014 009A3D1C
	v_cmp_u_f32_e64 s[38:39], v25, v25                         // 00000000B5EC: D0480026 00023319
	v_add3_u32 v28, v25, v31, 1                                // 00000000B5F4: D1FF001C 02063F19
	v_cndmask_b32_e64 v21, v28, v30, s[38:39]                  // 00000000B5FC: D1000015 009A3D1C
	v_perm_b32 v24, v21, v20, s51                              // 00000000B604: D1ED0018 00CE2915
	v_cmp_u_f32_e64 s[38:39], v26, v26                         // 00000000B60C: D0480026 0002351A
	v_add3_u32 v28, v26, v31, 1                                // 00000000B614: D1FF001C 02063F1A
	v_cndmask_b32_e64 v20, v28, v30, s[38:39]                  // 00000000B61C: D1000014 009A3D1C
	v_cmp_u_f32_e64 s[38:39], v27, v27                         // 00000000B624: D0480026 0002371B
	v_add3_u32 v28, v27, v31, 1                                // 00000000B62C: D1FF001C 02063F1B
	v_cndmask_b32_e64 v21, v28, v30, s[38:39]                  // 00000000B634: D1000015 009A3D1C
	v_perm_b32 v25, v21, v20, s51                              // 00000000B63C: D1ED0019 00CE2915
	ds_write_b64 v5, v[24:25]                                  // 00000000B644: D89A0000 00001805
	v_mov_b32_e32 v24, v89                                     // 00000000B64C: 7E300359
	v_mov_b32_e32 v25, v93                                     // 00000000B650: 7E32035D
	v_mov_b32_e32 v26, v97                                     // 00000000B654: 7E340361
	v_mov_b32_e32 v27, v101                                    // 00000000B658: 7E360365
	v_mul_f32_e32 v24, s43, v24                                // 00000000B65C: 0A30302B
	v_mul_f32_e32 v25, s43, v25                                // 00000000B660: 0A32322B
	v_mul_f32_e32 v26, s43, v26                                // 00000000B664: 0A34342B
	v_mul_f32_e32 v27, s43, v27                                // 00000000B668: 0A36362B
	v_cmp_u_f32_e64 s[38:39], v24, v24                         // 00000000B66C: D0480026 00023118
	v_add3_u32 v28, v24, v31, 1                                // 00000000B674: D1FF001C 02063F18
	v_cndmask_b32_e64 v20, v28, v30, s[38:39]                  // 00000000B67C: D1000014 009A3D1C
	v_cmp_u_f32_e64 s[38:39], v25, v25                         // 00000000B684: D0480026 00023319
	v_add3_u32 v28, v25, v31, 1                                // 00000000B68C: D1FF001C 02063F19
	v_cndmask_b32_e64 v21, v28, v30, s[38:39]                  // 00000000B694: D1000015 009A3D1C
	v_perm_b32 v24, v21, v20, s51                              // 00000000B69C: D1ED0018 00CE2915
	v_cmp_u_f32_e64 s[38:39], v26, v26                         // 00000000B6A4: D0480026 0002351A
	v_add3_u32 v28, v26, v31, 1                                // 00000000B6AC: D1FF001C 02063F1A
	v_cndmask_b32_e64 v20, v28, v30, s[38:39]                  // 00000000B6B4: D1000014 009A3D1C
	v_cmp_u_f32_e64 s[38:39], v27, v27                         // 00000000B6BC: D0480026 0002371B
	v_add3_u32 v28, v27, v31, 1                                // 00000000B6C4: D1FF001C 02063F1B
	v_cndmask_b32_e64 v21, v28, v30, s[38:39]                  // 00000000B6CC: D1000015 009A3D1C
	v_perm_b32 v25, v21, v20, s51                              // 00000000B6D4: D1ED0019 00CE2915
	ds_write_b64 v5, v[24:25] offset:1152                      // 00000000B6DC: D89A0480 00001805
	v_mov_b32_e32 v24, v90                                     // 00000000B6E4: 7E30035A
	v_mov_b32_e32 v25, v94                                     // 00000000B6E8: 7E32035E
	v_mov_b32_e32 v26, v98                                     // 00000000B6EC: 7E340362
	v_mov_b32_e32 v27, v102                                    // 00000000B6F0: 7E360366
	v_mul_f32_e32 v24, s43, v24                                // 00000000B6F4: 0A30302B
	v_mul_f32_e32 v25, s43, v25                                // 00000000B6F8: 0A32322B
	v_mul_f32_e32 v26, s43, v26                                // 00000000B6FC: 0A34342B
	v_mul_f32_e32 v27, s43, v27                                // 00000000B700: 0A36362B
	v_cmp_u_f32_e64 s[38:39], v24, v24                         // 00000000B704: D0480026 00023118
	v_add3_u32 v28, v24, v31, 1                                // 00000000B70C: D1FF001C 02063F18
	v_cndmask_b32_e64 v20, v28, v30, s[38:39]                  // 00000000B714: D1000014 009A3D1C
	v_cmp_u_f32_e64 s[38:39], v25, v25                         // 00000000B71C: D0480026 00023319
	v_add3_u32 v28, v25, v31, 1                                // 00000000B724: D1FF001C 02063F19
	v_cndmask_b32_e64 v21, v28, v30, s[38:39]                  // 00000000B72C: D1000015 009A3D1C
	v_perm_b32 v24, v21, v20, s51                              // 00000000B734: D1ED0018 00CE2915
	v_cmp_u_f32_e64 s[38:39], v26, v26                         // 00000000B73C: D0480026 0002351A
	v_add3_u32 v28, v26, v31, 1                                // 00000000B744: D1FF001C 02063F1A
	v_cndmask_b32_e64 v20, v28, v30, s[38:39]                  // 00000000B74C: D1000014 009A3D1C
	v_cmp_u_f32_e64 s[38:39], v27, v27                         // 00000000B754: D0480026 0002371B
	v_add3_u32 v28, v27, v31, 1                                // 00000000B75C: D1FF001C 02063F1B
	v_cndmask_b32_e64 v21, v28, v30, s[38:39]                  // 00000000B764: D1000015 009A3D1C
	v_perm_b32 v25, v21, v20, s51                              // 00000000B76C: D1ED0019 00CE2915
	ds_write_b64 v5, v[24:25] offset:144                       // 00000000B774: D89A0090 00001805
	v_mov_b32_e32 v24, v91                                     // 00000000B77C: 7E30035B
	v_mov_b32_e32 v25, v95                                     // 00000000B780: 7E32035F
	v_mov_b32_e32 v26, v99                                     // 00000000B784: 7E340363
	v_mov_b32_e32 v27, v103                                    // 00000000B788: 7E360367
	v_mul_f32_e32 v24, s43, v24                                // 00000000B78C: 0A30302B
	v_mul_f32_e32 v25, s43, v25                                // 00000000B790: 0A32322B
	v_mul_f32_e32 v26, s43, v26                                // 00000000B794: 0A34342B
	v_mul_f32_e32 v27, s43, v27                                // 00000000B798: 0A36362B
	v_cmp_u_f32_e64 s[38:39], v24, v24                         // 00000000B79C: D0480026 00023118
	v_add3_u32 v28, v24, v31, 1                                // 00000000B7A4: D1FF001C 02063F18
	v_cndmask_b32_e64 v20, v28, v30, s[38:39]                  // 00000000B7AC: D1000014 009A3D1C
	v_cmp_u_f32_e64 s[38:39], v25, v25                         // 00000000B7B4: D0480026 00023319
	v_add3_u32 v28, v25, v31, 1                                // 00000000B7BC: D1FF001C 02063F19
	v_cndmask_b32_e64 v21, v28, v30, s[38:39]                  // 00000000B7C4: D1000015 009A3D1C
	v_perm_b32 v24, v21, v20, s51                              // 00000000B7CC: D1ED0018 00CE2915
	v_cmp_u_f32_e64 s[38:39], v26, v26                         // 00000000B7D4: D0480026 0002351A
	v_add3_u32 v28, v26, v31, 1                                // 00000000B7DC: D1FF001C 02063F1A
	v_cndmask_b32_e64 v20, v28, v30, s[38:39]                  // 00000000B7E4: D1000014 009A3D1C
	v_cmp_u_f32_e64 s[38:39], v27, v27                         // 00000000B7EC: D0480026 0002371B
	v_add3_u32 v28, v27, v31, 1                                // 00000000B7F4: D1FF001C 02063F1B
	v_cndmask_b32_e64 v21, v28, v30, s[38:39]                  // 00000000B7FC: D1000015 009A3D1C
	v_perm_b32 v25, v21, v20, s51                              // 00000000B804: D1ED0019 00CE2915
	ds_write_b64 v5, v[24:25] offset:1296                      // 00000000B80C: D89A0510 00001805
	v_mov_b32_e32 v24, v104                                    // 00000000B814: 7E300368
	v_mov_b32_e32 v25, v108                                    // 00000000B818: 7E32036C
	v_mov_b32_e32 v26, v112                                    // 00000000B81C: 7E340370
	v_mov_b32_e32 v27, v116                                    // 00000000B820: 7E360374
	v_mul_f32_e32 v24, s43, v24                                // 00000000B824: 0A30302B
	v_mul_f32_e32 v25, s43, v25                                // 00000000B828: 0A32322B
	v_mul_f32_e32 v26, s43, v26                                // 00000000B82C: 0A34342B
	v_mul_f32_e32 v27, s43, v27                                // 00000000B830: 0A36362B
	v_cmp_u_f32_e64 s[38:39], v24, v24                         // 00000000B834: D0480026 00023118
	v_add3_u32 v28, v24, v31, 1                                // 00000000B83C: D1FF001C 02063F18
	v_cndmask_b32_e64 v20, v28, v30, s[38:39]                  // 00000000B844: D1000014 009A3D1C
	v_cmp_u_f32_e64 s[38:39], v25, v25                         // 00000000B84C: D0480026 00023319
	v_add3_u32 v28, v25, v31, 1                                // 00000000B854: D1FF001C 02063F19
	v_cndmask_b32_e64 v21, v28, v30, s[38:39]                  // 00000000B85C: D1000015 009A3D1C
	v_perm_b32 v24, v21, v20, s51                              // 00000000B864: D1ED0018 00CE2915
	v_cmp_u_f32_e64 s[38:39], v26, v26                         // 00000000B86C: D0480026 0002351A
	v_add3_u32 v28, v26, v31, 1                                // 00000000B874: D1FF001C 02063F1A
	v_cndmask_b32_e64 v20, v28, v30, s[38:39]                  // 00000000B87C: D1000014 009A3D1C
	v_cmp_u_f32_e64 s[38:39], v27, v27                         // 00000000B884: D0480026 0002371B
	v_add3_u32 v28, v27, v31, 1                                // 00000000B88C: D1FF001C 02063F1B
	v_cndmask_b32_e64 v21, v28, v30, s[38:39]                  // 00000000B894: D1000015 009A3D1C
	v_perm_b32 v25, v21, v20, s51                              // 00000000B89C: D1ED0019 00CE2915
	ds_write_b64 v5, v[24:25] offset:2304                      // 00000000B8A4: D89A0900 00001805
	v_mov_b32_e32 v24, v105                                    // 00000000B8AC: 7E300369
	v_mov_b32_e32 v25, v109                                    // 00000000B8B0: 7E32036D
	v_mov_b32_e32 v26, v113                                    // 00000000B8B4: 7E340371
	v_mov_b32_e32 v27, v117                                    // 00000000B8B8: 7E360375
	v_mul_f32_e32 v24, s43, v24                                // 00000000B8BC: 0A30302B
	v_mul_f32_e32 v25, s43, v25                                // 00000000B8C0: 0A32322B
	v_mul_f32_e32 v26, s43, v26                                // 00000000B8C4: 0A34342B
	v_mul_f32_e32 v27, s43, v27                                // 00000000B8C8: 0A36362B
	v_cmp_u_f32_e64 s[38:39], v24, v24                         // 00000000B8CC: D0480026 00023118
	v_add3_u32 v28, v24, v31, 1                                // 00000000B8D4: D1FF001C 02063F18
	v_cndmask_b32_e64 v20, v28, v30, s[38:39]                  // 00000000B8DC: D1000014 009A3D1C
	v_cmp_u_f32_e64 s[38:39], v25, v25                         // 00000000B8E4: D0480026 00023319
	v_add3_u32 v28, v25, v31, 1                                // 00000000B8EC: D1FF001C 02063F19
	v_cndmask_b32_e64 v21, v28, v30, s[38:39]                  // 00000000B8F4: D1000015 009A3D1C
	v_perm_b32 v24, v21, v20, s51                              // 00000000B8FC: D1ED0018 00CE2915
	v_cmp_u_f32_e64 s[38:39], v26, v26                         // 00000000B904: D0480026 0002351A
	v_add3_u32 v28, v26, v31, 1                                // 00000000B90C: D1FF001C 02063F1A
	v_cndmask_b32_e64 v20, v28, v30, s[38:39]                  // 00000000B914: D1000014 009A3D1C
	v_cmp_u_f32_e64 s[38:39], v27, v27                         // 00000000B91C: D0480026 0002371B
	v_add3_u32 v28, v27, v31, 1                                // 00000000B924: D1FF001C 02063F1B
	v_cndmask_b32_e64 v21, v28, v30, s[38:39]                  // 00000000B92C: D1000015 009A3D1C
	v_perm_b32 v25, v21, v20, s51                              // 00000000B934: D1ED0019 00CE2915
	ds_write_b64 v5, v[24:25] offset:3456                      // 00000000B93C: D89A0D80 00001805
	v_mov_b32_e32 v24, v106                                    // 00000000B944: 7E30036A
	v_mov_b32_e32 v25, v110                                    // 00000000B948: 7E32036E
	v_mov_b32_e32 v26, v114                                    // 00000000B94C: 7E340372
	v_mov_b32_e32 v27, v118                                    // 00000000B950: 7E360376
	v_mul_f32_e32 v24, s43, v24                                // 00000000B954: 0A30302B
	v_mul_f32_e32 v25, s43, v25                                // 00000000B958: 0A32322B
	v_mul_f32_e32 v26, s43, v26                                // 00000000B95C: 0A34342B
	v_mul_f32_e32 v27, s43, v27                                // 00000000B960: 0A36362B
	v_cmp_u_f32_e64 s[38:39], v24, v24                         // 00000000B964: D0480026 00023118
	v_add3_u32 v28, v24, v31, 1                                // 00000000B96C: D1FF001C 02063F18
	v_cndmask_b32_e64 v20, v28, v30, s[38:39]                  // 00000000B974: D1000014 009A3D1C
	v_cmp_u_f32_e64 s[38:39], v25, v25                         // 00000000B97C: D0480026 00023319
	v_add3_u32 v28, v25, v31, 1                                // 00000000B984: D1FF001C 02063F19
	v_cndmask_b32_e64 v21, v28, v30, s[38:39]                  // 00000000B98C: D1000015 009A3D1C
	v_perm_b32 v24, v21, v20, s51                              // 00000000B994: D1ED0018 00CE2915
	v_cmp_u_f32_e64 s[38:39], v26, v26                         // 00000000B99C: D0480026 0002351A
	v_add3_u32 v28, v26, v31, 1                                // 00000000B9A4: D1FF001C 02063F1A
	v_cndmask_b32_e64 v20, v28, v30, s[38:39]                  // 00000000B9AC: D1000014 009A3D1C
	v_cmp_u_f32_e64 s[38:39], v27, v27                         // 00000000B9B4: D0480026 0002371B
	v_add3_u32 v28, v27, v31, 1                                // 00000000B9BC: D1FF001C 02063F1B
	v_cndmask_b32_e64 v21, v28, v30, s[38:39]                  // 00000000B9C4: D1000015 009A3D1C
	v_perm_b32 v25, v21, v20, s51                              // 00000000B9CC: D1ED0019 00CE2915
	ds_write_b64 v5, v[24:25] offset:2448                      // 00000000B9D4: D89A0990 00001805
	v_mov_b32_e32 v24, v107                                    // 00000000B9DC: 7E30036B
	v_mov_b32_e32 v25, v111                                    // 00000000B9E0: 7E32036F
	v_mov_b32_e32 v26, v115                                    // 00000000B9E4: 7E340373
	v_mov_b32_e32 v27, v119                                    // 00000000B9E8: 7E360377
	v_mul_f32_e32 v24, s43, v24                                // 00000000B9EC: 0A30302B
	v_mul_f32_e32 v25, s43, v25                                // 00000000B9F0: 0A32322B
	v_mul_f32_e32 v26, s43, v26                                // 00000000B9F4: 0A34342B
	v_mul_f32_e32 v27, s43, v27                                // 00000000B9F8: 0A36362B
	v_cmp_u_f32_e64 s[38:39], v24, v24                         // 00000000B9FC: D0480026 00023118
	v_add3_u32 v28, v24, v31, 1                                // 00000000BA04: D1FF001C 02063F18
	v_cndmask_b32_e64 v20, v28, v30, s[38:39]                  // 00000000BA0C: D1000014 009A3D1C
	v_cmp_u_f32_e64 s[38:39], v25, v25                         // 00000000BA14: D0480026 00023319
	v_add3_u32 v28, v25, v31, 1                                // 00000000BA1C: D1FF001C 02063F19
	v_cndmask_b32_e64 v21, v28, v30, s[38:39]                  // 00000000BA24: D1000015 009A3D1C
	v_perm_b32 v24, v21, v20, s51                              // 00000000BA2C: D1ED0018 00CE2915
	v_cmp_u_f32_e64 s[38:39], v26, v26                         // 00000000BA34: D0480026 0002351A
	v_add3_u32 v28, v26, v31, 1                                // 00000000BA3C: D1FF001C 02063F1A
	v_cndmask_b32_e64 v20, v28, v30, s[38:39]                  // 00000000BA44: D1000014 009A3D1C
	v_cmp_u_f32_e64 s[38:39], v27, v27                         // 00000000BA4C: D0480026 0002371B
	v_add3_u32 v28, v27, v31, 1                                // 00000000BA54: D1FF001C 02063F1B
	v_cndmask_b32_e64 v21, v28, v30, s[38:39]                  // 00000000BA5C: D1000015 009A3D1C
	v_perm_b32 v25, v21, v20, s51                              // 00000000BA64: D1ED0019 00CE2915
	ds_write_b64 v5, v[24:25] offset:3600                      // 00000000BA6C: D89A0E10 00001805
	s_waitcnt lgkmcnt(4)                                       // 00000000BA74: BF8CC47F
	ds_read_b64 v[56:57], v4                                   // 00000000BA78: D8EC0000 38000004
	ds_read_b64 v[60:61], v4 offset:64                         // 00000000BA80: D8EC0040 3C000004
	ds_read_b64 v[58:59], v4 offset:1152                       // 00000000BA88: D8EC0480 3A000004
	ds_read_b64 v[62:63], v4 offset:1216                       // 00000000BA90: D8EC04C0 3E000004
	s_waitcnt lgkmcnt(4)                                       // 00000000BA98: BF8CC47F
	ds_read_b64 v[64:65], v4 offset:2304                       // 00000000BA9C: D8EC0900 40000004
	ds_read_b64 v[68:69], v4 offset:2368                       // 00000000BAA4: D8EC0940 44000004
	ds_read_b64 v[66:67], v4 offset:3456                       // 00000000BAAC: D8EC0D80 42000004
	ds_read_b64 v[70:71], v4 offset:3520                       // 00000000BAB4: D8EC0DC0 46000004
	s_waitcnt lgkmcnt(0)                                       // 00000000BABC: BF8CC07F
	v_mov_b32_e32 v18, v19                                     // 00000000BAC0: 7E240313
	buffer_store_dwordx4 v[56:59], v18, s[88:91], 0 offen offset:256// 00000000BAC4: E07C1100 80163812
	buffer_store_dwordx4 v[64:67], v18, s[88:91], 0 offen offset:384// 00000000BACC: E07C1180 80164012
	v_add_u32_e32 v18, 0x2000, v18                             // 00000000BAD4: 682424FF 00002000
	buffer_store_dwordx4 v[60:63], v18, s[88:91], 0 offen offset:256// 00000000BADC: E07C1100 80163C12
	buffer_store_dwordx4 v[68:71], v18, s[88:91], 0 offen offset:384// 00000000BAE4: E07C1180 80164412
	v_add_u32_e32 v18, 0x2000, v18                             // 00000000BAEC: 682424FF 00002000
	v_mov_b32_e32 v24, v120                                    // 00000000BAF4: 7E300378
	v_mov_b32_e32 v25, v124                                    // 00000000BAF8: 7E32037C
	v_mov_b32_e32 v26, v128                                    // 00000000BAFC: 7E340380
	v_mov_b32_e32 v27, v132                                    // 00000000BB00: 7E360384
	v_mul_f32_e32 v24, s43, v24                                // 00000000BB04: 0A30302B
	v_mul_f32_e32 v25, s43, v25                                // 00000000BB08: 0A32322B
	v_mul_f32_e32 v26, s43, v26                                // 00000000BB0C: 0A34342B
	v_mul_f32_e32 v27, s43, v27                                // 00000000BB10: 0A36362B
	v_cmp_u_f32_e64 s[38:39], v24, v24                         // 00000000BB14: D0480026 00023118
	v_add3_u32 v28, v24, v31, 1                                // 00000000BB1C: D1FF001C 02063F18
	v_cndmask_b32_e64 v20, v28, v30, s[38:39]                  // 00000000BB24: D1000014 009A3D1C
	v_cmp_u_f32_e64 s[38:39], v25, v25                         // 00000000BB2C: D0480026 00023319
	v_add3_u32 v28, v25, v31, 1                                // 00000000BB34: D1FF001C 02063F19
	v_cndmask_b32_e64 v21, v28, v30, s[38:39]                  // 00000000BB3C: D1000015 009A3D1C
	v_perm_b32 v24, v21, v20, s51                              // 00000000BB44: D1ED0018 00CE2915
	v_cmp_u_f32_e64 s[38:39], v26, v26                         // 00000000BB4C: D0480026 0002351A
	v_add3_u32 v28, v26, v31, 1                                // 00000000BB54: D1FF001C 02063F1A
	v_cndmask_b32_e64 v20, v28, v30, s[38:39]                  // 00000000BB5C: D1000014 009A3D1C
	v_cmp_u_f32_e64 s[38:39], v27, v27                         // 00000000BB64: D0480026 0002371B
	v_add3_u32 v28, v27, v31, 1                                // 00000000BB6C: D1FF001C 02063F1B
	v_cndmask_b32_e64 v21, v28, v30, s[38:39]                  // 00000000BB74: D1000015 009A3D1C
	v_perm_b32 v25, v21, v20, s51                              // 00000000BB7C: D1ED0019 00CE2915
	ds_write_b64 v5, v[24:25]                                  // 00000000BB84: D89A0000 00001805
	v_mov_b32_e32 v24, v121                                    // 00000000BB8C: 7E300379
	v_mov_b32_e32 v25, v125                                    // 00000000BB90: 7E32037D
	v_mov_b32_e32 v26, v129                                    // 00000000BB94: 7E340381
	v_mov_b32_e32 v27, v133                                    // 00000000BB98: 7E360385
	v_mul_f32_e32 v24, s43, v24                                // 00000000BB9C: 0A30302B
	v_mul_f32_e32 v25, s43, v25                                // 00000000BBA0: 0A32322B
	v_mul_f32_e32 v26, s43, v26                                // 00000000BBA4: 0A34342B
	v_mul_f32_e32 v27, s43, v27                                // 00000000BBA8: 0A36362B
	v_cmp_u_f32_e64 s[38:39], v24, v24                         // 00000000BBAC: D0480026 00023118
	v_add3_u32 v28, v24, v31, 1                                // 00000000BBB4: D1FF001C 02063F18
	v_cndmask_b32_e64 v20, v28, v30, s[38:39]                  // 00000000BBBC: D1000014 009A3D1C
	v_cmp_u_f32_e64 s[38:39], v25, v25                         // 00000000BBC4: D0480026 00023319
	v_add3_u32 v28, v25, v31, 1                                // 00000000BBCC: D1FF001C 02063F19
	v_cndmask_b32_e64 v21, v28, v30, s[38:39]                  // 00000000BBD4: D1000015 009A3D1C
	v_perm_b32 v24, v21, v20, s51                              // 00000000BBDC: D1ED0018 00CE2915
	v_cmp_u_f32_e64 s[38:39], v26, v26                         // 00000000BBE4: D0480026 0002351A
	v_add3_u32 v28, v26, v31, 1                                // 00000000BBEC: D1FF001C 02063F1A
	v_cndmask_b32_e64 v20, v28, v30, s[38:39]                  // 00000000BBF4: D1000014 009A3D1C
	v_cmp_u_f32_e64 s[38:39], v27, v27                         // 00000000BBFC: D0480026 0002371B
	v_add3_u32 v28, v27, v31, 1                                // 00000000BC04: D1FF001C 02063F1B
	v_cndmask_b32_e64 v21, v28, v30, s[38:39]                  // 00000000BC0C: D1000015 009A3D1C
	v_perm_b32 v25, v21, v20, s51                              // 00000000BC14: D1ED0019 00CE2915
	ds_write_b64 v5, v[24:25] offset:1152                      // 00000000BC1C: D89A0480 00001805
	v_mov_b32_e32 v24, v122                                    // 00000000BC24: 7E30037A
	v_mov_b32_e32 v25, v126                                    // 00000000BC28: 7E32037E
	v_mov_b32_e32 v26, v130                                    // 00000000BC2C: 7E340382
	v_mov_b32_e32 v27, v134                                    // 00000000BC30: 7E360386
	v_mul_f32_e32 v24, s43, v24                                // 00000000BC34: 0A30302B
	v_mul_f32_e32 v25, s43, v25                                // 00000000BC38: 0A32322B
	v_mul_f32_e32 v26, s43, v26                                // 00000000BC3C: 0A34342B
	v_mul_f32_e32 v27, s43, v27                                // 00000000BC40: 0A36362B
	v_cmp_u_f32_e64 s[38:39], v24, v24                         // 00000000BC44: D0480026 00023118
	v_add3_u32 v28, v24, v31, 1                                // 00000000BC4C: D1FF001C 02063F18
	v_cndmask_b32_e64 v20, v28, v30, s[38:39]                  // 00000000BC54: D1000014 009A3D1C
	v_cmp_u_f32_e64 s[38:39], v25, v25                         // 00000000BC5C: D0480026 00023319
	v_add3_u32 v28, v25, v31, 1                                // 00000000BC64: D1FF001C 02063F19
	v_cndmask_b32_e64 v21, v28, v30, s[38:39]                  // 00000000BC6C: D1000015 009A3D1C
	v_perm_b32 v24, v21, v20, s51                              // 00000000BC74: D1ED0018 00CE2915
	v_cmp_u_f32_e64 s[38:39], v26, v26                         // 00000000BC7C: D0480026 0002351A
	v_add3_u32 v28, v26, v31, 1                                // 00000000BC84: D1FF001C 02063F1A
	v_cndmask_b32_e64 v20, v28, v30, s[38:39]                  // 00000000BC8C: D1000014 009A3D1C
	v_cmp_u_f32_e64 s[38:39], v27, v27                         // 00000000BC94: D0480026 0002371B
	v_add3_u32 v28, v27, v31, 1                                // 00000000BC9C: D1FF001C 02063F1B
	v_cndmask_b32_e64 v21, v28, v30, s[38:39]                  // 00000000BCA4: D1000015 009A3D1C
	v_perm_b32 v25, v21, v20, s51                              // 00000000BCAC: D1ED0019 00CE2915
	ds_write_b64 v5, v[24:25] offset:144                       // 00000000BCB4: D89A0090 00001805
	v_mov_b32_e32 v24, v123                                    // 00000000BCBC: 7E30037B
	v_mov_b32_e32 v25, v127                                    // 00000000BCC0: 7E32037F
	v_mov_b32_e32 v26, v131                                    // 00000000BCC4: 7E340383
	v_mov_b32_e32 v27, v135                                    // 00000000BCC8: 7E360387
	v_mul_f32_e32 v24, s43, v24                                // 00000000BCCC: 0A30302B
	v_mul_f32_e32 v25, s43, v25                                // 00000000BCD0: 0A32322B
	v_mul_f32_e32 v26, s43, v26                                // 00000000BCD4: 0A34342B
	v_mul_f32_e32 v27, s43, v27                                // 00000000BCD8: 0A36362B
	v_cmp_u_f32_e64 s[38:39], v24, v24                         // 00000000BCDC: D0480026 00023118
	v_add3_u32 v28, v24, v31, 1                                // 00000000BCE4: D1FF001C 02063F18
	v_cndmask_b32_e64 v20, v28, v30, s[38:39]                  // 00000000BCEC: D1000014 009A3D1C
	v_cmp_u_f32_e64 s[38:39], v25, v25                         // 00000000BCF4: D0480026 00023319
	v_add3_u32 v28, v25, v31, 1                                // 00000000BCFC: D1FF001C 02063F19
	v_cndmask_b32_e64 v21, v28, v30, s[38:39]                  // 00000000BD04: D1000015 009A3D1C
	v_perm_b32 v24, v21, v20, s51                              // 00000000BD0C: D1ED0018 00CE2915
	v_cmp_u_f32_e64 s[38:39], v26, v26                         // 00000000BD14: D0480026 0002351A
	v_add3_u32 v28, v26, v31, 1                                // 00000000BD1C: D1FF001C 02063F1A
	v_cndmask_b32_e64 v20, v28, v30, s[38:39]                  // 00000000BD24: D1000014 009A3D1C
	v_cmp_u_f32_e64 s[38:39], v27, v27                         // 00000000BD2C: D0480026 0002371B
	v_add3_u32 v28, v27, v31, 1                                // 00000000BD34: D1FF001C 02063F1B
	v_cndmask_b32_e64 v21, v28, v30, s[38:39]                  // 00000000BD3C: D1000015 009A3D1C
	v_perm_b32 v25, v21, v20, s51                              // 00000000BD44: D1ED0019 00CE2915
	ds_write_b64 v5, v[24:25] offset:1296                      // 00000000BD4C: D89A0510 00001805
	v_mov_b32_e32 v24, v136                                    // 00000000BD54: 7E300388
	v_mov_b32_e32 v25, v140                                    // 00000000BD58: 7E32038C
	v_mov_b32_e32 v26, v144                                    // 00000000BD5C: 7E340390
	v_mov_b32_e32 v27, v148                                    // 00000000BD60: 7E360394
	v_mul_f32_e32 v24, s43, v24                                // 00000000BD64: 0A30302B
	v_mul_f32_e32 v25, s43, v25                                // 00000000BD68: 0A32322B
	v_mul_f32_e32 v26, s43, v26                                // 00000000BD6C: 0A34342B
	v_mul_f32_e32 v27, s43, v27                                // 00000000BD70: 0A36362B
	v_cmp_u_f32_e64 s[38:39], v24, v24                         // 00000000BD74: D0480026 00023118
	v_add3_u32 v28, v24, v31, 1                                // 00000000BD7C: D1FF001C 02063F18
	v_cndmask_b32_e64 v20, v28, v30, s[38:39]                  // 00000000BD84: D1000014 009A3D1C
	v_cmp_u_f32_e64 s[38:39], v25, v25                         // 00000000BD8C: D0480026 00023319
	v_add3_u32 v28, v25, v31, 1                                // 00000000BD94: D1FF001C 02063F19
	v_cndmask_b32_e64 v21, v28, v30, s[38:39]                  // 00000000BD9C: D1000015 009A3D1C
	v_perm_b32 v24, v21, v20, s51                              // 00000000BDA4: D1ED0018 00CE2915
	v_cmp_u_f32_e64 s[38:39], v26, v26                         // 00000000BDAC: D0480026 0002351A
	v_add3_u32 v28, v26, v31, 1                                // 00000000BDB4: D1FF001C 02063F1A
	v_cndmask_b32_e64 v20, v28, v30, s[38:39]                  // 00000000BDBC: D1000014 009A3D1C
	v_cmp_u_f32_e64 s[38:39], v27, v27                         // 00000000BDC4: D0480026 0002371B
	v_add3_u32 v28, v27, v31, 1                                // 00000000BDCC: D1FF001C 02063F1B
	v_cndmask_b32_e64 v21, v28, v30, s[38:39]                  // 00000000BDD4: D1000015 009A3D1C
	v_perm_b32 v25, v21, v20, s51                              // 00000000BDDC: D1ED0019 00CE2915
	ds_write_b64 v5, v[24:25] offset:2304                      // 00000000BDE4: D89A0900 00001805
	v_mov_b32_e32 v24, v137                                    // 00000000BDEC: 7E300389
	v_mov_b32_e32 v25, v141                                    // 00000000BDF0: 7E32038D
	v_mov_b32_e32 v26, v145                                    // 00000000BDF4: 7E340391
	v_mov_b32_e32 v27, v149                                    // 00000000BDF8: 7E360395
	v_mul_f32_e32 v24, s43, v24                                // 00000000BDFC: 0A30302B
	v_mul_f32_e32 v25, s43, v25                                // 00000000BE00: 0A32322B
	v_mul_f32_e32 v26, s43, v26                                // 00000000BE04: 0A34342B
	v_mul_f32_e32 v27, s43, v27                                // 00000000BE08: 0A36362B
	v_cmp_u_f32_e64 s[38:39], v24, v24                         // 00000000BE0C: D0480026 00023118
	v_add3_u32 v28, v24, v31, 1                                // 00000000BE14: D1FF001C 02063F18
	v_cndmask_b32_e64 v20, v28, v30, s[38:39]                  // 00000000BE1C: D1000014 009A3D1C
	v_cmp_u_f32_e64 s[38:39], v25, v25                         // 00000000BE24: D0480026 00023319
	v_add3_u32 v28, v25, v31, 1                                // 00000000BE2C: D1FF001C 02063F19
	v_cndmask_b32_e64 v21, v28, v30, s[38:39]                  // 00000000BE34: D1000015 009A3D1C
	v_perm_b32 v24, v21, v20, s51                              // 00000000BE3C: D1ED0018 00CE2915
	v_cmp_u_f32_e64 s[38:39], v26, v26                         // 00000000BE44: D0480026 0002351A
	v_add3_u32 v28, v26, v31, 1                                // 00000000BE4C: D1FF001C 02063F1A
	v_cndmask_b32_e64 v20, v28, v30, s[38:39]                  // 00000000BE54: D1000014 009A3D1C
	v_cmp_u_f32_e64 s[38:39], v27, v27                         // 00000000BE5C: D0480026 0002371B
	v_add3_u32 v28, v27, v31, 1                                // 00000000BE64: D1FF001C 02063F1B
	v_cndmask_b32_e64 v21, v28, v30, s[38:39]                  // 00000000BE6C: D1000015 009A3D1C
	v_perm_b32 v25, v21, v20, s51                              // 00000000BE74: D1ED0019 00CE2915
	ds_write_b64 v5, v[24:25] offset:3456                      // 00000000BE7C: D89A0D80 00001805
	v_mov_b32_e32 v24, v138                                    // 00000000BE84: 7E30038A
	v_mov_b32_e32 v25, v142                                    // 00000000BE88: 7E32038E
	v_mov_b32_e32 v26, v146                                    // 00000000BE8C: 7E340392
	v_mov_b32_e32 v27, v150                                    // 00000000BE90: 7E360396
	v_mul_f32_e32 v24, s43, v24                                // 00000000BE94: 0A30302B
	v_mul_f32_e32 v25, s43, v25                                // 00000000BE98: 0A32322B
	v_mul_f32_e32 v26, s43, v26                                // 00000000BE9C: 0A34342B
	v_mul_f32_e32 v27, s43, v27                                // 00000000BEA0: 0A36362B
	v_cmp_u_f32_e64 s[38:39], v24, v24                         // 00000000BEA4: D0480026 00023118
	v_add3_u32 v28, v24, v31, 1                                // 00000000BEAC: D1FF001C 02063F18
	v_cndmask_b32_e64 v20, v28, v30, s[38:39]                  // 00000000BEB4: D1000014 009A3D1C
	v_cmp_u_f32_e64 s[38:39], v25, v25                         // 00000000BEBC: D0480026 00023319
	v_add3_u32 v28, v25, v31, 1                                // 00000000BEC4: D1FF001C 02063F19
	v_cndmask_b32_e64 v21, v28, v30, s[38:39]                  // 00000000BECC: D1000015 009A3D1C
	v_perm_b32 v24, v21, v20, s51                              // 00000000BED4: D1ED0018 00CE2915
	v_cmp_u_f32_e64 s[38:39], v26, v26                         // 00000000BEDC: D0480026 0002351A
	v_add3_u32 v28, v26, v31, 1                                // 00000000BEE4: D1FF001C 02063F1A
	v_cndmask_b32_e64 v20, v28, v30, s[38:39]                  // 00000000BEEC: D1000014 009A3D1C
	v_cmp_u_f32_e64 s[38:39], v27, v27                         // 00000000BEF4: D0480026 0002371B
	v_add3_u32 v28, v27, v31, 1                                // 00000000BEFC: D1FF001C 02063F1B
	v_cndmask_b32_e64 v21, v28, v30, s[38:39]                  // 00000000BF04: D1000015 009A3D1C
	v_perm_b32 v25, v21, v20, s51                              // 00000000BF0C: D1ED0019 00CE2915
	ds_write_b64 v5, v[24:25] offset:2448                      // 00000000BF14: D89A0990 00001805
	v_mov_b32_e32 v24, v139                                    // 00000000BF1C: 7E30038B
	v_mov_b32_e32 v25, v143                                    // 00000000BF20: 7E32038F
	v_mov_b32_e32 v26, v147                                    // 00000000BF24: 7E340393
	v_mov_b32_e32 v27, v151                                    // 00000000BF28: 7E360397
	v_mul_f32_e32 v24, s43, v24                                // 00000000BF2C: 0A30302B
	v_mul_f32_e32 v25, s43, v25                                // 00000000BF30: 0A32322B
	v_mul_f32_e32 v26, s43, v26                                // 00000000BF34: 0A34342B
	v_mul_f32_e32 v27, s43, v27                                // 00000000BF38: 0A36362B
	v_cmp_u_f32_e64 s[38:39], v24, v24                         // 00000000BF3C: D0480026 00023118
	v_add3_u32 v28, v24, v31, 1                                // 00000000BF44: D1FF001C 02063F18
	v_cndmask_b32_e64 v20, v28, v30, s[38:39]                  // 00000000BF4C: D1000014 009A3D1C
	v_cmp_u_f32_e64 s[38:39], v25, v25                         // 00000000BF54: D0480026 00023319
	v_add3_u32 v28, v25, v31, 1                                // 00000000BF5C: D1FF001C 02063F19
	v_cndmask_b32_e64 v21, v28, v30, s[38:39]                  // 00000000BF64: D1000015 009A3D1C
	v_perm_b32 v24, v21, v20, s51                              // 00000000BF6C: D1ED0018 00CE2915
	v_cmp_u_f32_e64 s[38:39], v26, v26                         // 00000000BF74: D0480026 0002351A
	v_add3_u32 v28, v26, v31, 1                                // 00000000BF7C: D1FF001C 02063F1A
	v_cndmask_b32_e64 v20, v28, v30, s[38:39]                  // 00000000BF84: D1000014 009A3D1C
	v_cmp_u_f32_e64 s[38:39], v27, v27                         // 00000000BF8C: D0480026 0002371B
	v_add3_u32 v28, v27, v31, 1                                // 00000000BF94: D1FF001C 02063F1B
	v_cndmask_b32_e64 v21, v28, v30, s[38:39]                  // 00000000BF9C: D1000015 009A3D1C
	v_perm_b32 v25, v21, v20, s51                              // 00000000BFA4: D1ED0019 00CE2915
	ds_write_b64 v5, v[24:25] offset:3600                      // 00000000BFAC: D89A0E10 00001805
	s_waitcnt lgkmcnt(4)                                       // 00000000BFB4: BF8CC47F
	ds_read_b64 v[56:57], v4                                   // 00000000BFB8: D8EC0000 38000004
	ds_read_b64 v[60:61], v4 offset:64                         // 00000000BFC0: D8EC0040 3C000004
	ds_read_b64 v[58:59], v4 offset:1152                       // 00000000BFC8: D8EC0480 3A000004
	ds_read_b64 v[62:63], v4 offset:1216                       // 00000000BFD0: D8EC04C0 3E000004
	s_waitcnt lgkmcnt(4)                                       // 00000000BFD8: BF8CC47F
	ds_read_b64 v[64:65], v4 offset:2304                       // 00000000BFDC: D8EC0900 40000004
	ds_read_b64 v[68:69], v4 offset:2368                       // 00000000BFE4: D8EC0940 44000004
	ds_read_b64 v[66:67], v4 offset:3456                       // 00000000BFEC: D8EC0D80 42000004
	ds_read_b64 v[70:71], v4 offset:3520                       // 00000000BFF4: D8EC0DC0 46000004
	s_waitcnt lgkmcnt(0)                                       // 00000000BFFC: BF8CC07F
	v_mov_b32_e32 v18, v19                                     // 00000000C000: 7E240313
	buffer_store_dwordx4 v[56:59], v18, s[88:91], 0 offen offset:512// 00000000C004: E07C1200 80163812
	buffer_store_dwordx4 v[64:67], v18, s[88:91], 0 offen offset:640// 00000000C00C: E07C1280 80164012
	v_add_u32_e32 v18, 0x2000, v18                             // 00000000C014: 682424FF 00002000
	buffer_store_dwordx4 v[60:63], v18, s[88:91], 0 offen offset:512// 00000000C01C: E07C1200 80163C12
	buffer_store_dwordx4 v[68:71], v18, s[88:91], 0 offen offset:640// 00000000C024: E07C1280 80164412
	v_add_u32_e32 v18, 0x2000, v18                             // 00000000C02C: 682424FF 00002000
	v_mov_b32_e32 v24, v152                                    // 00000000C034: 7E300398
	v_accvgpr_read_b32 v25, a144                               // 00000000C038: D3D84019 18000190
	v_accvgpr_read_b32 v26, a148                               // 00000000C040: D3D8401A 18000194
	v_accvgpr_read_b32 v27, a152                               // 00000000C048: D3D8401B 18000198
	v_mul_f32_e32 v24, s43, v24                                // 00000000C050: 0A30302B
	v_mul_f32_e32 v25, s43, v25                                // 00000000C054: 0A32322B
	v_mul_f32_e32 v26, s43, v26                                // 00000000C058: 0A34342B
	v_mul_f32_e32 v27, s43, v27                                // 00000000C05C: 0A36362B
	v_cmp_u_f32_e64 s[38:39], v24, v24                         // 00000000C060: D0480026 00023118
	v_add3_u32 v28, v24, v31, 1                                // 00000000C068: D1FF001C 02063F18
	v_cndmask_b32_e64 v20, v28, v30, s[38:39]                  // 00000000C070: D1000014 009A3D1C
	v_cmp_u_f32_e64 s[38:39], v25, v25                         // 00000000C078: D0480026 00023319
	v_add3_u32 v28, v25, v31, 1                                // 00000000C080: D1FF001C 02063F19
	v_cndmask_b32_e64 v21, v28, v30, s[38:39]                  // 00000000C088: D1000015 009A3D1C
	v_perm_b32 v24, v21, v20, s51                              // 00000000C090: D1ED0018 00CE2915
	v_cmp_u_f32_e64 s[38:39], v26, v26                         // 00000000C098: D0480026 0002351A
	v_add3_u32 v28, v26, v31, 1                                // 00000000C0A0: D1FF001C 02063F1A
	v_cndmask_b32_e64 v20, v28, v30, s[38:39]                  // 00000000C0A8: D1000014 009A3D1C
	v_cmp_u_f32_e64 s[38:39], v27, v27                         // 00000000C0B0: D0480026 0002371B
	v_add3_u32 v28, v27, v31, 1                                // 00000000C0B8: D1FF001C 02063F1B
	v_cndmask_b32_e64 v21, v28, v30, s[38:39]                  // 00000000C0C0: D1000015 009A3D1C
	v_perm_b32 v25, v21, v20, s51                              // 00000000C0C8: D1ED0019 00CE2915
	ds_write_b64 v5, v[24:25]                                  // 00000000C0D0: D89A0000 00001805
	v_mov_b32_e32 v24, v153                                    // 00000000C0D8: 7E300399
	v_accvgpr_read_b32 v25, a145                               // 00000000C0DC: D3D84019 18000191
	v_accvgpr_read_b32 v26, a149                               // 00000000C0E4: D3D8401A 18000195
	v_accvgpr_read_b32 v27, a153                               // 00000000C0EC: D3D8401B 18000199
	v_mul_f32_e32 v24, s43, v24                                // 00000000C0F4: 0A30302B
	v_mul_f32_e32 v25, s43, v25                                // 00000000C0F8: 0A32322B
	v_mul_f32_e32 v26, s43, v26                                // 00000000C0FC: 0A34342B
	v_mul_f32_e32 v27, s43, v27                                // 00000000C100: 0A36362B
	v_cmp_u_f32_e64 s[38:39], v24, v24                         // 00000000C104: D0480026 00023118
	v_add3_u32 v28, v24, v31, 1                                // 00000000C10C: D1FF001C 02063F18
	v_cndmask_b32_e64 v20, v28, v30, s[38:39]                  // 00000000C114: D1000014 009A3D1C
	v_cmp_u_f32_e64 s[38:39], v25, v25                         // 00000000C11C: D0480026 00023319
	v_add3_u32 v28, v25, v31, 1                                // 00000000C124: D1FF001C 02063F19
	v_cndmask_b32_e64 v21, v28, v30, s[38:39]                  // 00000000C12C: D1000015 009A3D1C
	v_perm_b32 v24, v21, v20, s51                              // 00000000C134: D1ED0018 00CE2915
	v_cmp_u_f32_e64 s[38:39], v26, v26                         // 00000000C13C: D0480026 0002351A
	v_add3_u32 v28, v26, v31, 1                                // 00000000C144: D1FF001C 02063F1A
	v_cndmask_b32_e64 v20, v28, v30, s[38:39]                  // 00000000C14C: D1000014 009A3D1C
	v_cmp_u_f32_e64 s[38:39], v27, v27                         // 00000000C154: D0480026 0002371B
	v_add3_u32 v28, v27, v31, 1                                // 00000000C15C: D1FF001C 02063F1B
	v_cndmask_b32_e64 v21, v28, v30, s[38:39]                  // 00000000C164: D1000015 009A3D1C
	v_perm_b32 v25, v21, v20, s51                              // 00000000C16C: D1ED0019 00CE2915
	ds_write_b64 v5, v[24:25] offset:1152                      // 00000000C174: D89A0480 00001805
	v_mov_b32_e32 v24, v154                                    // 00000000C17C: 7E30039A
	v_accvgpr_read_b32 v25, a146                               // 00000000C180: D3D84019 18000192
	v_accvgpr_read_b32 v26, a150                               // 00000000C188: D3D8401A 18000196
	v_accvgpr_read_b32 v27, a154                               // 00000000C190: D3D8401B 1800019A
	v_mul_f32_e32 v24, s43, v24                                // 00000000C198: 0A30302B
	v_mul_f32_e32 v25, s43, v25                                // 00000000C19C: 0A32322B
	v_mul_f32_e32 v26, s43, v26                                // 00000000C1A0: 0A34342B
	v_mul_f32_e32 v27, s43, v27                                // 00000000C1A4: 0A36362B
	v_cmp_u_f32_e64 s[38:39], v24, v24                         // 00000000C1A8: D0480026 00023118
	v_add3_u32 v28, v24, v31, 1                                // 00000000C1B0: D1FF001C 02063F18
	v_cndmask_b32_e64 v20, v28, v30, s[38:39]                  // 00000000C1B8: D1000014 009A3D1C
	v_cmp_u_f32_e64 s[38:39], v25, v25                         // 00000000C1C0: D0480026 00023319
	v_add3_u32 v28, v25, v31, 1                                // 00000000C1C8: D1FF001C 02063F19
	v_cndmask_b32_e64 v21, v28, v30, s[38:39]                  // 00000000C1D0: D1000015 009A3D1C
	v_perm_b32 v24, v21, v20, s51                              // 00000000C1D8: D1ED0018 00CE2915
	v_cmp_u_f32_e64 s[38:39], v26, v26                         // 00000000C1E0: D0480026 0002351A
	v_add3_u32 v28, v26, v31, 1                                // 00000000C1E8: D1FF001C 02063F1A
	v_cndmask_b32_e64 v20, v28, v30, s[38:39]                  // 00000000C1F0: D1000014 009A3D1C
	v_cmp_u_f32_e64 s[38:39], v27, v27                         // 00000000C1F8: D0480026 0002371B
	v_add3_u32 v28, v27, v31, 1                                // 00000000C200: D1FF001C 02063F1B
	v_cndmask_b32_e64 v21, v28, v30, s[38:39]                  // 00000000C208: D1000015 009A3D1C
	v_perm_b32 v25, v21, v20, s51                              // 00000000C210: D1ED0019 00CE2915
	ds_write_b64 v5, v[24:25] offset:144                       // 00000000C218: D89A0090 00001805
	v_mov_b32_e32 v24, v155                                    // 00000000C220: 7E30039B
	v_accvgpr_read_b32 v25, a147                               // 00000000C224: D3D84019 18000193
	v_accvgpr_read_b32 v26, a151                               // 00000000C22C: D3D8401A 18000197
	v_accvgpr_read_b32 v27, a155                               // 00000000C234: D3D8401B 1800019B
	v_mul_f32_e32 v24, s43, v24                                // 00000000C23C: 0A30302B
	v_mul_f32_e32 v25, s43, v25                                // 00000000C240: 0A32322B
	v_mul_f32_e32 v26, s43, v26                                // 00000000C244: 0A34342B
	v_mul_f32_e32 v27, s43, v27                                // 00000000C248: 0A36362B
	v_cmp_u_f32_e64 s[38:39], v24, v24                         // 00000000C24C: D0480026 00023118
	v_add3_u32 v28, v24, v31, 1                                // 00000000C254: D1FF001C 02063F18
	v_cndmask_b32_e64 v20, v28, v30, s[38:39]                  // 00000000C25C: D1000014 009A3D1C
	v_cmp_u_f32_e64 s[38:39], v25, v25                         // 00000000C264: D0480026 00023319
	v_add3_u32 v28, v25, v31, 1                                // 00000000C26C: D1FF001C 02063F19
	v_cndmask_b32_e64 v21, v28, v30, s[38:39]                  // 00000000C274: D1000015 009A3D1C
	v_perm_b32 v24, v21, v20, s51                              // 00000000C27C: D1ED0018 00CE2915
	v_cmp_u_f32_e64 s[38:39], v26, v26                         // 00000000C284: D0480026 0002351A
	v_add3_u32 v28, v26, v31, 1                                // 00000000C28C: D1FF001C 02063F1A
	v_cndmask_b32_e64 v20, v28, v30, s[38:39]                  // 00000000C294: D1000014 009A3D1C
	v_cmp_u_f32_e64 s[38:39], v27, v27                         // 00000000C29C: D0480026 0002371B
	v_add3_u32 v28, v27, v31, 1                                // 00000000C2A4: D1FF001C 02063F1B
	v_cndmask_b32_e64 v21, v28, v30, s[38:39]                  // 00000000C2AC: D1000015 009A3D1C
	v_perm_b32 v25, v21, v20, s51                              // 00000000C2B4: D1ED0019 00CE2915
	ds_write_b64 v5, v[24:25] offset:1296                      // 00000000C2BC: D89A0510 00001805
	v_accvgpr_read_b32 v24, a156                               // 00000000C2C4: D3D84018 1800019C
	v_accvgpr_read_b32 v25, a160                               // 00000000C2CC: D3D84019 180001A0
	v_accvgpr_read_b32 v26, a164                               // 00000000C2D4: D3D8401A 180001A4
	v_accvgpr_read_b32 v27, a168                               // 00000000C2DC: D3D8401B 180001A8
	v_mul_f32_e32 v24, s43, v24                                // 00000000C2E4: 0A30302B
	v_mul_f32_e32 v25, s43, v25                                // 00000000C2E8: 0A32322B
	v_mul_f32_e32 v26, s43, v26                                // 00000000C2EC: 0A34342B
	v_mul_f32_e32 v27, s43, v27                                // 00000000C2F0: 0A36362B
	v_cmp_u_f32_e64 s[38:39], v24, v24                         // 00000000C2F4: D0480026 00023118
	v_add3_u32 v28, v24, v31, 1                                // 00000000C2FC: D1FF001C 02063F18
	v_cndmask_b32_e64 v20, v28, v30, s[38:39]                  // 00000000C304: D1000014 009A3D1C
	v_cmp_u_f32_e64 s[38:39], v25, v25                         // 00000000C30C: D0480026 00023319
	v_add3_u32 v28, v25, v31, 1                                // 00000000C314: D1FF001C 02063F19
	v_cndmask_b32_e64 v21, v28, v30, s[38:39]                  // 00000000C31C: D1000015 009A3D1C
	v_perm_b32 v24, v21, v20, s51                              // 00000000C324: D1ED0018 00CE2915
	v_cmp_u_f32_e64 s[38:39], v26, v26                         // 00000000C32C: D0480026 0002351A
	v_add3_u32 v28, v26, v31, 1                                // 00000000C334: D1FF001C 02063F1A
	v_cndmask_b32_e64 v20, v28, v30, s[38:39]                  // 00000000C33C: D1000014 009A3D1C
	v_cmp_u_f32_e64 s[38:39], v27, v27                         // 00000000C344: D0480026 0002371B
	v_add3_u32 v28, v27, v31, 1                                // 00000000C34C: D1FF001C 02063F1B
	v_cndmask_b32_e64 v21, v28, v30, s[38:39]                  // 00000000C354: D1000015 009A3D1C
	v_perm_b32 v25, v21, v20, s51                              // 00000000C35C: D1ED0019 00CE2915
	ds_write_b64 v5, v[24:25] offset:2304                      // 00000000C364: D89A0900 00001805
	v_accvgpr_read_b32 v24, a157                               // 00000000C36C: D3D84018 1800019D
	v_accvgpr_read_b32 v25, a161                               // 00000000C374: D3D84019 180001A1
	v_accvgpr_read_b32 v26, a165                               // 00000000C37C: D3D8401A 180001A5
	v_accvgpr_read_b32 v27, a169                               // 00000000C384: D3D8401B 180001A9
	v_mul_f32_e32 v24, s43, v24                                // 00000000C38C: 0A30302B
	v_mul_f32_e32 v25, s43, v25                                // 00000000C390: 0A32322B
	v_mul_f32_e32 v26, s43, v26                                // 00000000C394: 0A34342B
	v_mul_f32_e32 v27, s43, v27                                // 00000000C398: 0A36362B
	v_cmp_u_f32_e64 s[38:39], v24, v24                         // 00000000C39C: D0480026 00023118
	v_add3_u32 v28, v24, v31, 1                                // 00000000C3A4: D1FF001C 02063F18
	v_cndmask_b32_e64 v20, v28, v30, s[38:39]                  // 00000000C3AC: D1000014 009A3D1C
	v_cmp_u_f32_e64 s[38:39], v25, v25                         // 00000000C3B4: D0480026 00023319
	v_add3_u32 v28, v25, v31, 1                                // 00000000C3BC: D1FF001C 02063F19
	v_cndmask_b32_e64 v21, v28, v30, s[38:39]                  // 00000000C3C4: D1000015 009A3D1C
	v_perm_b32 v24, v21, v20, s51                              // 00000000C3CC: D1ED0018 00CE2915
	v_cmp_u_f32_e64 s[38:39], v26, v26                         // 00000000C3D4: D0480026 0002351A
	v_add3_u32 v28, v26, v31, 1                                // 00000000C3DC: D1FF001C 02063F1A
	v_cndmask_b32_e64 v20, v28, v30, s[38:39]                  // 00000000C3E4: D1000014 009A3D1C
	v_cmp_u_f32_e64 s[38:39], v27, v27                         // 00000000C3EC: D0480026 0002371B
	v_add3_u32 v28, v27, v31, 1                                // 00000000C3F4: D1FF001C 02063F1B
	v_cndmask_b32_e64 v21, v28, v30, s[38:39]                  // 00000000C3FC: D1000015 009A3D1C
	v_perm_b32 v25, v21, v20, s51                              // 00000000C404: D1ED0019 00CE2915
	ds_write_b64 v5, v[24:25] offset:3456                      // 00000000C40C: D89A0D80 00001805
	v_accvgpr_read_b32 v24, a158                               // 00000000C414: D3D84018 1800019E
	v_accvgpr_read_b32 v25, a162                               // 00000000C41C: D3D84019 180001A2
	v_accvgpr_read_b32 v26, a166                               // 00000000C424: D3D8401A 180001A6
	v_accvgpr_read_b32 v27, a170                               // 00000000C42C: D3D8401B 180001AA
	v_mul_f32_e32 v24, s43, v24                                // 00000000C434: 0A30302B
	v_mul_f32_e32 v25, s43, v25                                // 00000000C438: 0A32322B
	v_mul_f32_e32 v26, s43, v26                                // 00000000C43C: 0A34342B
	v_mul_f32_e32 v27, s43, v27                                // 00000000C440: 0A36362B
	v_cmp_u_f32_e64 s[38:39], v24, v24                         // 00000000C444: D0480026 00023118
	v_add3_u32 v28, v24, v31, 1                                // 00000000C44C: D1FF001C 02063F18
	v_cndmask_b32_e64 v20, v28, v30, s[38:39]                  // 00000000C454: D1000014 009A3D1C
	v_cmp_u_f32_e64 s[38:39], v25, v25                         // 00000000C45C: D0480026 00023319
	v_add3_u32 v28, v25, v31, 1                                // 00000000C464: D1FF001C 02063F19
	v_cndmask_b32_e64 v21, v28, v30, s[38:39]                  // 00000000C46C: D1000015 009A3D1C
	v_perm_b32 v24, v21, v20, s51                              // 00000000C474: D1ED0018 00CE2915
	v_cmp_u_f32_e64 s[38:39], v26, v26                         // 00000000C47C: D0480026 0002351A
	v_add3_u32 v28, v26, v31, 1                                // 00000000C484: D1FF001C 02063F1A
	v_cndmask_b32_e64 v20, v28, v30, s[38:39]                  // 00000000C48C: D1000014 009A3D1C
	v_cmp_u_f32_e64 s[38:39], v27, v27                         // 00000000C494: D0480026 0002371B
	v_add3_u32 v28, v27, v31, 1                                // 00000000C49C: D1FF001C 02063F1B
	v_cndmask_b32_e64 v21, v28, v30, s[38:39]                  // 00000000C4A4: D1000015 009A3D1C
	v_perm_b32 v25, v21, v20, s51                              // 00000000C4AC: D1ED0019 00CE2915
	ds_write_b64 v5, v[24:25] offset:2448                      // 00000000C4B4: D89A0990 00001805
	v_accvgpr_read_b32 v24, a159                               // 00000000C4BC: D3D84018 1800019F
	v_accvgpr_read_b32 v25, a163                               // 00000000C4C4: D3D84019 180001A3
	v_accvgpr_read_b32 v26, a167                               // 00000000C4CC: D3D8401A 180001A7
	v_accvgpr_read_b32 v27, a171                               // 00000000C4D4: D3D8401B 180001AB
	v_mul_f32_e32 v24, s43, v24                                // 00000000C4DC: 0A30302B
	v_mul_f32_e32 v25, s43, v25                                // 00000000C4E0: 0A32322B
	v_mul_f32_e32 v26, s43, v26                                // 00000000C4E4: 0A34342B
	v_mul_f32_e32 v27, s43, v27                                // 00000000C4E8: 0A36362B
	v_cmp_u_f32_e64 s[38:39], v24, v24                         // 00000000C4EC: D0480026 00023118
	v_add3_u32 v28, v24, v31, 1                                // 00000000C4F4: D1FF001C 02063F18
	v_cndmask_b32_e64 v20, v28, v30, s[38:39]                  // 00000000C4FC: D1000014 009A3D1C
	v_cmp_u_f32_e64 s[38:39], v25, v25                         // 00000000C504: D0480026 00023319
	v_add3_u32 v28, v25, v31, 1                                // 00000000C50C: D1FF001C 02063F19
	v_cndmask_b32_e64 v21, v28, v30, s[38:39]                  // 00000000C514: D1000015 009A3D1C
	v_perm_b32 v24, v21, v20, s51                              // 00000000C51C: D1ED0018 00CE2915
	v_cmp_u_f32_e64 s[38:39], v26, v26                         // 00000000C524: D0480026 0002351A
	v_add3_u32 v28, v26, v31, 1                                // 00000000C52C: D1FF001C 02063F1A
	v_cndmask_b32_e64 v20, v28, v30, s[38:39]                  // 00000000C534: D1000014 009A3D1C
	v_cmp_u_f32_e64 s[38:39], v27, v27                         // 00000000C53C: D0480026 0002371B
	v_add3_u32 v28, v27, v31, 1                                // 00000000C544: D1FF001C 02063F1B
	v_cndmask_b32_e64 v21, v28, v30, s[38:39]                  // 00000000C54C: D1000015 009A3D1C
	v_perm_b32 v25, v21, v20, s51                              // 00000000C554: D1ED0019 00CE2915
	ds_write_b64 v5, v[24:25] offset:3600                      // 00000000C55C: D89A0E10 00001805
	s_waitcnt lgkmcnt(4)                                       // 00000000C564: BF8CC47F
	ds_read_b64 v[56:57], v4                                   // 00000000C568: D8EC0000 38000004
	ds_read_b64 v[60:61], v4 offset:64                         // 00000000C570: D8EC0040 3C000004
	ds_read_b64 v[58:59], v4 offset:1152                       // 00000000C578: D8EC0480 3A000004
	ds_read_b64 v[62:63], v4 offset:1216                       // 00000000C580: D8EC04C0 3E000004
	s_waitcnt lgkmcnt(4)                                       // 00000000C588: BF8CC47F
	ds_read_b64 v[64:65], v4 offset:2304                       // 00000000C58C: D8EC0900 40000004
	ds_read_b64 v[68:69], v4 offset:2368                       // 00000000C594: D8EC0940 44000004
	ds_read_b64 v[66:67], v4 offset:3456                       // 00000000C59C: D8EC0D80 42000004
	ds_read_b64 v[70:71], v4 offset:3520                       // 00000000C5A4: D8EC0DC0 46000004
	s_waitcnt lgkmcnt(0)                                       // 00000000C5AC: BF8CC07F
	v_mov_b32_e32 v18, v19                                     // 00000000C5B0: 7E240313
	buffer_store_dwordx4 v[56:59], v18, s[88:91], 0 offen offset:768// 00000000C5B4: E07C1300 80163812
	buffer_store_dwordx4 v[64:67], v18, s[88:91], 0 offen offset:896// 00000000C5BC: E07C1380 80164012
	v_add_u32_e32 v18, 0x2000, v18                             // 00000000C5C4: 682424FF 00002000
	buffer_store_dwordx4 v[60:63], v18, s[88:91], 0 offen offset:768// 00000000C5CC: E07C1300 80163C12
	buffer_store_dwordx4 v[68:71], v18, s[88:91], 0 offen offset:896// 00000000C5D4: E07C1380 80164412
	v_add_u32_e32 v18, 0x2000, v18                             // 00000000C5DC: 682424FF 00002000
	s_mov_b32 s56, 0x10000                                     // 00000000C5E4: BEB800FF 00010000
	v_add_u32_e64 v19, v19, s56                                // 00000000C5EC: D1340013 00007113
	v_mov_b32_e32 v24, v156                                    // 00000000C5F4: 7E30039C
	v_mov_b32_e32 v25, v160                                    // 00000000C5F8: 7E3203A0
	v_mov_b32_e32 v26, v164                                    // 00000000C5FC: 7E3403A4
	v_mov_b32_e32 v27, v168                                    // 00000000C600: 7E3603A8
	v_mul_f32_e32 v24, s43, v24                                // 00000000C604: 0A30302B
	v_mul_f32_e32 v25, s43, v25                                // 00000000C608: 0A32322B
	v_mul_f32_e32 v26, s43, v26                                // 00000000C60C: 0A34342B
	v_mul_f32_e32 v27, s43, v27                                // 00000000C610: 0A36362B
	v_cmp_u_f32_e64 s[38:39], v24, v24                         // 00000000C614: D0480026 00023118
	v_add3_u32 v28, v24, v31, 1                                // 00000000C61C: D1FF001C 02063F18
	v_cndmask_b32_e64 v20, v28, v30, s[38:39]                  // 00000000C624: D1000014 009A3D1C
	v_cmp_u_f32_e64 s[38:39], v25, v25                         // 00000000C62C: D0480026 00023319
	v_add3_u32 v28, v25, v31, 1                                // 00000000C634: D1FF001C 02063F19
	v_cndmask_b32_e64 v21, v28, v30, s[38:39]                  // 00000000C63C: D1000015 009A3D1C
	v_perm_b32 v24, v21, v20, s51                              // 00000000C644: D1ED0018 00CE2915
	v_cmp_u_f32_e64 s[38:39], v26, v26                         // 00000000C64C: D0480026 0002351A
	v_add3_u32 v28, v26, v31, 1                                // 00000000C654: D1FF001C 02063F1A
	v_cndmask_b32_e64 v20, v28, v30, s[38:39]                  // 00000000C65C: D1000014 009A3D1C
	v_cmp_u_f32_e64 s[38:39], v27, v27                         // 00000000C664: D0480026 0002371B
	v_add3_u32 v28, v27, v31, 1                                // 00000000C66C: D1FF001C 02063F1B
	v_cndmask_b32_e64 v21, v28, v30, s[38:39]                  // 00000000C674: D1000015 009A3D1C
	v_perm_b32 v25, v21, v20, s51                              // 00000000C67C: D1ED0019 00CE2915
	ds_write_b64 v5, v[24:25]                                  // 00000000C684: D89A0000 00001805
	v_mov_b32_e32 v24, v157                                    // 00000000C68C: 7E30039D
	v_mov_b32_e32 v25, v161                                    // 00000000C690: 7E3203A1
	v_mov_b32_e32 v26, v165                                    // 00000000C694: 7E3403A5
	v_mov_b32_e32 v27, v169                                    // 00000000C698: 7E3603A9
	v_mul_f32_e32 v24, s43, v24                                // 00000000C69C: 0A30302B
	v_mul_f32_e32 v25, s43, v25                                // 00000000C6A0: 0A32322B
	v_mul_f32_e32 v26, s43, v26                                // 00000000C6A4: 0A34342B
	v_mul_f32_e32 v27, s43, v27                                // 00000000C6A8: 0A36362B
	v_cmp_u_f32_e64 s[38:39], v24, v24                         // 00000000C6AC: D0480026 00023118
	v_add3_u32 v28, v24, v31, 1                                // 00000000C6B4: D1FF001C 02063F18
	v_cndmask_b32_e64 v20, v28, v30, s[38:39]                  // 00000000C6BC: D1000014 009A3D1C
	v_cmp_u_f32_e64 s[38:39], v25, v25                         // 00000000C6C4: D0480026 00023319
	v_add3_u32 v28, v25, v31, 1                                // 00000000C6CC: D1FF001C 02063F19
	v_cndmask_b32_e64 v21, v28, v30, s[38:39]                  // 00000000C6D4: D1000015 009A3D1C
	v_perm_b32 v24, v21, v20, s51                              // 00000000C6DC: D1ED0018 00CE2915
	v_cmp_u_f32_e64 s[38:39], v26, v26                         // 00000000C6E4: D0480026 0002351A
	v_add3_u32 v28, v26, v31, 1                                // 00000000C6EC: D1FF001C 02063F1A
	v_cndmask_b32_e64 v20, v28, v30, s[38:39]                  // 00000000C6F4: D1000014 009A3D1C
	v_cmp_u_f32_e64 s[38:39], v27, v27                         // 00000000C6FC: D0480026 0002371B
	v_add3_u32 v28, v27, v31, 1                                // 00000000C704: D1FF001C 02063F1B
	v_cndmask_b32_e64 v21, v28, v30, s[38:39]                  // 00000000C70C: D1000015 009A3D1C
	v_perm_b32 v25, v21, v20, s51                              // 00000000C714: D1ED0019 00CE2915
	ds_write_b64 v5, v[24:25] offset:1152                      // 00000000C71C: D89A0480 00001805
	v_mov_b32_e32 v24, v158                                    // 00000000C724: 7E30039E
	v_mov_b32_e32 v25, v162                                    // 00000000C728: 7E3203A2
	v_mov_b32_e32 v26, v166                                    // 00000000C72C: 7E3403A6
	v_mov_b32_e32 v27, v170                                    // 00000000C730: 7E3603AA
	v_mul_f32_e32 v24, s43, v24                                // 00000000C734: 0A30302B
	v_mul_f32_e32 v25, s43, v25                                // 00000000C738: 0A32322B
	v_mul_f32_e32 v26, s43, v26                                // 00000000C73C: 0A34342B
	v_mul_f32_e32 v27, s43, v27                                // 00000000C740: 0A36362B
	v_cmp_u_f32_e64 s[38:39], v24, v24                         // 00000000C744: D0480026 00023118
	v_add3_u32 v28, v24, v31, 1                                // 00000000C74C: D1FF001C 02063F18
	v_cndmask_b32_e64 v20, v28, v30, s[38:39]                  // 00000000C754: D1000014 009A3D1C
	v_cmp_u_f32_e64 s[38:39], v25, v25                         // 00000000C75C: D0480026 00023319
	v_add3_u32 v28, v25, v31, 1                                // 00000000C764: D1FF001C 02063F19
	v_cndmask_b32_e64 v21, v28, v30, s[38:39]                  // 00000000C76C: D1000015 009A3D1C
	v_perm_b32 v24, v21, v20, s51                              // 00000000C774: D1ED0018 00CE2915
	v_cmp_u_f32_e64 s[38:39], v26, v26                         // 00000000C77C: D0480026 0002351A
	v_add3_u32 v28, v26, v31, 1                                // 00000000C784: D1FF001C 02063F1A
	v_cndmask_b32_e64 v20, v28, v30, s[38:39]                  // 00000000C78C: D1000014 009A3D1C
	v_cmp_u_f32_e64 s[38:39], v27, v27                         // 00000000C794: D0480026 0002371B
	v_add3_u32 v28, v27, v31, 1                                // 00000000C79C: D1FF001C 02063F1B
	v_cndmask_b32_e64 v21, v28, v30, s[38:39]                  // 00000000C7A4: D1000015 009A3D1C
	v_perm_b32 v25, v21, v20, s51                              // 00000000C7AC: D1ED0019 00CE2915
	ds_write_b64 v5, v[24:25] offset:144                       // 00000000C7B4: D89A0090 00001805
	v_mov_b32_e32 v24, v159                                    // 00000000C7BC: 7E30039F
	v_mov_b32_e32 v25, v163                                    // 00000000C7C0: 7E3203A3
	v_mov_b32_e32 v26, v167                                    // 00000000C7C4: 7E3403A7
	v_mov_b32_e32 v27, v171                                    // 00000000C7C8: 7E3603AB
	v_mul_f32_e32 v24, s43, v24                                // 00000000C7CC: 0A30302B
	v_mul_f32_e32 v25, s43, v25                                // 00000000C7D0: 0A32322B
	v_mul_f32_e32 v26, s43, v26                                // 00000000C7D4: 0A34342B
	v_mul_f32_e32 v27, s43, v27                                // 00000000C7D8: 0A36362B
	v_cmp_u_f32_e64 s[38:39], v24, v24                         // 00000000C7DC: D0480026 00023118
	v_add3_u32 v28, v24, v31, 1                                // 00000000C7E4: D1FF001C 02063F18
	v_cndmask_b32_e64 v20, v28, v30, s[38:39]                  // 00000000C7EC: D1000014 009A3D1C
	v_cmp_u_f32_e64 s[38:39], v25, v25                         // 00000000C7F4: D0480026 00023319
	v_add3_u32 v28, v25, v31, 1                                // 00000000C7FC: D1FF001C 02063F19
	v_cndmask_b32_e64 v21, v28, v30, s[38:39]                  // 00000000C804: D1000015 009A3D1C
	v_perm_b32 v24, v21, v20, s51                              // 00000000C80C: D1ED0018 00CE2915
	v_cmp_u_f32_e64 s[38:39], v26, v26                         // 00000000C814: D0480026 0002351A
	v_add3_u32 v28, v26, v31, 1                                // 00000000C81C: D1FF001C 02063F1A
	v_cndmask_b32_e64 v20, v28, v30, s[38:39]                  // 00000000C824: D1000014 009A3D1C
	v_cmp_u_f32_e64 s[38:39], v27, v27                         // 00000000C82C: D0480026 0002371B
	v_add3_u32 v28, v27, v31, 1                                // 00000000C834: D1FF001C 02063F1B
	v_cndmask_b32_e64 v21, v28, v30, s[38:39]                  // 00000000C83C: D1000015 009A3D1C
	v_perm_b32 v25, v21, v20, s51                              // 00000000C844: D1ED0019 00CE2915
	ds_write_b64 v5, v[24:25] offset:1296                      // 00000000C84C: D89A0510 00001805
	v_mov_b32_e32 v24, v172                                    // 00000000C854: 7E3003AC
	v_mov_b32_e32 v25, v176                                    // 00000000C858: 7E3203B0
	v_mov_b32_e32 v26, v180                                    // 00000000C85C: 7E3403B4
	v_mov_b32_e32 v27, v184                                    // 00000000C860: 7E3603B8
	v_mul_f32_e32 v24, s43, v24                                // 00000000C864: 0A30302B
	v_mul_f32_e32 v25, s43, v25                                // 00000000C868: 0A32322B
	v_mul_f32_e32 v26, s43, v26                                // 00000000C86C: 0A34342B
	v_mul_f32_e32 v27, s43, v27                                // 00000000C870: 0A36362B
	v_cmp_u_f32_e64 s[38:39], v24, v24                         // 00000000C874: D0480026 00023118
	v_add3_u32 v28, v24, v31, 1                                // 00000000C87C: D1FF001C 02063F18
	v_cndmask_b32_e64 v20, v28, v30, s[38:39]                  // 00000000C884: D1000014 009A3D1C
	v_cmp_u_f32_e64 s[38:39], v25, v25                         // 00000000C88C: D0480026 00023319
	v_add3_u32 v28, v25, v31, 1                                // 00000000C894: D1FF001C 02063F19
	v_cndmask_b32_e64 v21, v28, v30, s[38:39]                  // 00000000C89C: D1000015 009A3D1C
	v_perm_b32 v24, v21, v20, s51                              // 00000000C8A4: D1ED0018 00CE2915
	v_cmp_u_f32_e64 s[38:39], v26, v26                         // 00000000C8AC: D0480026 0002351A
	v_add3_u32 v28, v26, v31, 1                                // 00000000C8B4: D1FF001C 02063F1A
	v_cndmask_b32_e64 v20, v28, v30, s[38:39]                  // 00000000C8BC: D1000014 009A3D1C
	v_cmp_u_f32_e64 s[38:39], v27, v27                         // 00000000C8C4: D0480026 0002371B
	v_add3_u32 v28, v27, v31, 1                                // 00000000C8CC: D1FF001C 02063F1B
	v_cndmask_b32_e64 v21, v28, v30, s[38:39]                  // 00000000C8D4: D1000015 009A3D1C
	v_perm_b32 v25, v21, v20, s51                              // 00000000C8DC: D1ED0019 00CE2915
	ds_write_b64 v5, v[24:25] offset:2304                      // 00000000C8E4: D89A0900 00001805
	v_mov_b32_e32 v24, v173                                    // 00000000C8EC: 7E3003AD
	v_mov_b32_e32 v25, v177                                    // 00000000C8F0: 7E3203B1
	v_mov_b32_e32 v26, v181                                    // 00000000C8F4: 7E3403B5
	v_mov_b32_e32 v27, v185                                    // 00000000C8F8: 7E3603B9
	v_mul_f32_e32 v24, s43, v24                                // 00000000C8FC: 0A30302B
	v_mul_f32_e32 v25, s43, v25                                // 00000000C900: 0A32322B
	v_mul_f32_e32 v26, s43, v26                                // 00000000C904: 0A34342B
	v_mul_f32_e32 v27, s43, v27                                // 00000000C908: 0A36362B
	v_cmp_u_f32_e64 s[38:39], v24, v24                         // 00000000C90C: D0480026 00023118
	v_add3_u32 v28, v24, v31, 1                                // 00000000C914: D1FF001C 02063F18
	v_cndmask_b32_e64 v20, v28, v30, s[38:39]                  // 00000000C91C: D1000014 009A3D1C
	v_cmp_u_f32_e64 s[38:39], v25, v25                         // 00000000C924: D0480026 00023319
	v_add3_u32 v28, v25, v31, 1                                // 00000000C92C: D1FF001C 02063F19
	v_cndmask_b32_e64 v21, v28, v30, s[38:39]                  // 00000000C934: D1000015 009A3D1C
	v_perm_b32 v24, v21, v20, s51                              // 00000000C93C: D1ED0018 00CE2915
	v_cmp_u_f32_e64 s[38:39], v26, v26                         // 00000000C944: D0480026 0002351A
	v_add3_u32 v28, v26, v31, 1                                // 00000000C94C: D1FF001C 02063F1A
	v_cndmask_b32_e64 v20, v28, v30, s[38:39]                  // 00000000C954: D1000014 009A3D1C
	v_cmp_u_f32_e64 s[38:39], v27, v27                         // 00000000C95C: D0480026 0002371B
	v_add3_u32 v28, v27, v31, 1                                // 00000000C964: D1FF001C 02063F1B
	v_cndmask_b32_e64 v21, v28, v30, s[38:39]                  // 00000000C96C: D1000015 009A3D1C
	v_perm_b32 v25, v21, v20, s51                              // 00000000C974: D1ED0019 00CE2915
	ds_write_b64 v5, v[24:25] offset:3456                      // 00000000C97C: D89A0D80 00001805
	v_mov_b32_e32 v24, v174                                    // 00000000C984: 7E3003AE
	v_mov_b32_e32 v25, v178                                    // 00000000C988: 7E3203B2
	v_mov_b32_e32 v26, v182                                    // 00000000C98C: 7E3403B6
	v_mov_b32_e32 v27, v186                                    // 00000000C990: 7E3603BA
	v_mul_f32_e32 v24, s43, v24                                // 00000000C994: 0A30302B
	v_mul_f32_e32 v25, s43, v25                                // 00000000C998: 0A32322B
	v_mul_f32_e32 v26, s43, v26                                // 00000000C99C: 0A34342B
	v_mul_f32_e32 v27, s43, v27                                // 00000000C9A0: 0A36362B
	v_cmp_u_f32_e64 s[38:39], v24, v24                         // 00000000C9A4: D0480026 00023118
	v_add3_u32 v28, v24, v31, 1                                // 00000000C9AC: D1FF001C 02063F18
	v_cndmask_b32_e64 v20, v28, v30, s[38:39]                  // 00000000C9B4: D1000014 009A3D1C
	v_cmp_u_f32_e64 s[38:39], v25, v25                         // 00000000C9BC: D0480026 00023319
	v_add3_u32 v28, v25, v31, 1                                // 00000000C9C4: D1FF001C 02063F19
	v_cndmask_b32_e64 v21, v28, v30, s[38:39]                  // 00000000C9CC: D1000015 009A3D1C
	v_perm_b32 v24, v21, v20, s51                              // 00000000C9D4: D1ED0018 00CE2915
	v_cmp_u_f32_e64 s[38:39], v26, v26                         // 00000000C9DC: D0480026 0002351A
	v_add3_u32 v28, v26, v31, 1                                // 00000000C9E4: D1FF001C 02063F1A
	v_cndmask_b32_e64 v20, v28, v30, s[38:39]                  // 00000000C9EC: D1000014 009A3D1C
	v_cmp_u_f32_e64 s[38:39], v27, v27                         // 00000000C9F4: D0480026 0002371B
	v_add3_u32 v28, v27, v31, 1                                // 00000000C9FC: D1FF001C 02063F1B
	v_cndmask_b32_e64 v21, v28, v30, s[38:39]                  // 00000000CA04: D1000015 009A3D1C
	v_perm_b32 v25, v21, v20, s51                              // 00000000CA0C: D1ED0019 00CE2915
	ds_write_b64 v5, v[24:25] offset:2448                      // 00000000CA14: D89A0990 00001805
	v_mov_b32_e32 v24, v175                                    // 00000000CA1C: 7E3003AF
	v_mov_b32_e32 v25, v179                                    // 00000000CA20: 7E3203B3
	v_mov_b32_e32 v26, v183                                    // 00000000CA24: 7E3403B7
	v_mov_b32_e32 v27, v187                                    // 00000000CA28: 7E3603BB
	v_mul_f32_e32 v24, s43, v24                                // 00000000CA2C: 0A30302B
	v_mul_f32_e32 v25, s43, v25                                // 00000000CA30: 0A32322B
	v_mul_f32_e32 v26, s43, v26                                // 00000000CA34: 0A34342B
	v_mul_f32_e32 v27, s43, v27                                // 00000000CA38: 0A36362B
	v_cmp_u_f32_e64 s[38:39], v24, v24                         // 00000000CA3C: D0480026 00023118
	v_add3_u32 v28, v24, v31, 1                                // 00000000CA44: D1FF001C 02063F18
	v_cndmask_b32_e64 v20, v28, v30, s[38:39]                  // 00000000CA4C: D1000014 009A3D1C
	v_cmp_u_f32_e64 s[38:39], v25, v25                         // 00000000CA54: D0480026 00023319
	v_add3_u32 v28, v25, v31, 1                                // 00000000CA5C: D1FF001C 02063F19
	v_cndmask_b32_e64 v21, v28, v30, s[38:39]                  // 00000000CA64: D1000015 009A3D1C
	v_perm_b32 v24, v21, v20, s51                              // 00000000CA6C: D1ED0018 00CE2915
	v_cmp_u_f32_e64 s[38:39], v26, v26                         // 00000000CA74: D0480026 0002351A
	v_add3_u32 v28, v26, v31, 1                                // 00000000CA7C: D1FF001C 02063F1A
	v_cndmask_b32_e64 v20, v28, v30, s[38:39]                  // 00000000CA84: D1000014 009A3D1C
	v_cmp_u_f32_e64 s[38:39], v27, v27                         // 00000000CA8C: D0480026 0002371B
	v_add3_u32 v28, v27, v31, 1                                // 00000000CA94: D1FF001C 02063F1B
	v_cndmask_b32_e64 v21, v28, v30, s[38:39]                  // 00000000CA9C: D1000015 009A3D1C
	v_perm_b32 v25, v21, v20, s51                              // 00000000CAA4: D1ED0019 00CE2915
	ds_write_b64 v5, v[24:25] offset:3600                      // 00000000CAAC: D89A0E10 00001805
	s_waitcnt lgkmcnt(4)                                       // 00000000CAB4: BF8CC47F
	ds_read_b64 v[56:57], v4                                   // 00000000CAB8: D8EC0000 38000004
	ds_read_b64 v[60:61], v4 offset:64                         // 00000000CAC0: D8EC0040 3C000004
	ds_read_b64 v[58:59], v4 offset:1152                       // 00000000CAC8: D8EC0480 3A000004
	ds_read_b64 v[62:63], v4 offset:1216                       // 00000000CAD0: D8EC04C0 3E000004
	s_waitcnt lgkmcnt(4)                                       // 00000000CAD8: BF8CC47F
	ds_read_b64 v[64:65], v4 offset:2304                       // 00000000CADC: D8EC0900 40000004
	ds_read_b64 v[68:69], v4 offset:2368                       // 00000000CAE4: D8EC0940 44000004
	ds_read_b64 v[66:67], v4 offset:3456                       // 00000000CAEC: D8EC0D80 42000004
	ds_read_b64 v[70:71], v4 offset:3520                       // 00000000CAF4: D8EC0DC0 46000004
	s_waitcnt lgkmcnt(0)                                       // 00000000CAFC: BF8CC07F
	v_mov_b32_e32 v18, v19                                     // 00000000CB00: 7E240313
	buffer_store_dwordx4 v[56:59], v18, s[88:91], 0 offen      // 00000000CB04: E07C1000 80163812
	buffer_store_dwordx4 v[64:67], v18, s[88:91], 0 offen offset:128// 00000000CB0C: E07C1080 80164012
	v_add_u32_e32 v18, 0x2000, v18                             // 00000000CB14: 682424FF 00002000
	buffer_store_dwordx4 v[60:63], v18, s[88:91], 0 offen      // 00000000CB1C: E07C1000 80163C12
	buffer_store_dwordx4 v[68:71], v18, s[88:91], 0 offen offset:128// 00000000CB24: E07C1080 80164412
	v_add_u32_e32 v18, 0x2000, v18                             // 00000000CB2C: 682424FF 00002000
	v_mov_b32_e32 v24, v188                                    // 00000000CB34: 7E3003BC
	v_mov_b32_e32 v25, v192                                    // 00000000CB38: 7E3203C0
	v_mov_b32_e32 v26, v196                                    // 00000000CB3C: 7E3403C4
	v_mov_b32_e32 v27, v200                                    // 00000000CB40: 7E3603C8
	v_mul_f32_e32 v24, s43, v24                                // 00000000CB44: 0A30302B
	v_mul_f32_e32 v25, s43, v25                                // 00000000CB48: 0A32322B
	v_mul_f32_e32 v26, s43, v26                                // 00000000CB4C: 0A34342B
	v_mul_f32_e32 v27, s43, v27                                // 00000000CB50: 0A36362B
	v_cmp_u_f32_e64 s[38:39], v24, v24                         // 00000000CB54: D0480026 00023118
	v_add3_u32 v28, v24, v31, 1                                // 00000000CB5C: D1FF001C 02063F18
	v_cndmask_b32_e64 v20, v28, v30, s[38:39]                  // 00000000CB64: D1000014 009A3D1C
	v_cmp_u_f32_e64 s[38:39], v25, v25                         // 00000000CB6C: D0480026 00023319
	v_add3_u32 v28, v25, v31, 1                                // 00000000CB74: D1FF001C 02063F19
	v_cndmask_b32_e64 v21, v28, v30, s[38:39]                  // 00000000CB7C: D1000015 009A3D1C
	v_perm_b32 v24, v21, v20, s51                              // 00000000CB84: D1ED0018 00CE2915
	v_cmp_u_f32_e64 s[38:39], v26, v26                         // 00000000CB8C: D0480026 0002351A
	v_add3_u32 v28, v26, v31, 1                                // 00000000CB94: D1FF001C 02063F1A
	v_cndmask_b32_e64 v20, v28, v30, s[38:39]                  // 00000000CB9C: D1000014 009A3D1C
	v_cmp_u_f32_e64 s[38:39], v27, v27                         // 00000000CBA4: D0480026 0002371B
	v_add3_u32 v28, v27, v31, 1                                // 00000000CBAC: D1FF001C 02063F1B
	v_cndmask_b32_e64 v21, v28, v30, s[38:39]                  // 00000000CBB4: D1000015 009A3D1C
	v_perm_b32 v25, v21, v20, s51                              // 00000000CBBC: D1ED0019 00CE2915
	ds_write_b64 v5, v[24:25]                                  // 00000000CBC4: D89A0000 00001805
	v_mov_b32_e32 v24, v189                                    // 00000000CBCC: 7E3003BD
	v_mov_b32_e32 v25, v193                                    // 00000000CBD0: 7E3203C1
	v_mov_b32_e32 v26, v197                                    // 00000000CBD4: 7E3403C5
	v_mov_b32_e32 v27, v201                                    // 00000000CBD8: 7E3603C9
	v_mul_f32_e32 v24, s43, v24                                // 00000000CBDC: 0A30302B
	v_mul_f32_e32 v25, s43, v25                                // 00000000CBE0: 0A32322B
	v_mul_f32_e32 v26, s43, v26                                // 00000000CBE4: 0A34342B
	v_mul_f32_e32 v27, s43, v27                                // 00000000CBE8: 0A36362B
	v_cmp_u_f32_e64 s[38:39], v24, v24                         // 00000000CBEC: D0480026 00023118
	v_add3_u32 v28, v24, v31, 1                                // 00000000CBF4: D1FF001C 02063F18
	v_cndmask_b32_e64 v20, v28, v30, s[38:39]                  // 00000000CBFC: D1000014 009A3D1C
	v_cmp_u_f32_e64 s[38:39], v25, v25                         // 00000000CC04: D0480026 00023319
	v_add3_u32 v28, v25, v31, 1                                // 00000000CC0C: D1FF001C 02063F19
	v_cndmask_b32_e64 v21, v28, v30, s[38:39]                  // 00000000CC14: D1000015 009A3D1C
	v_perm_b32 v24, v21, v20, s51                              // 00000000CC1C: D1ED0018 00CE2915
	v_cmp_u_f32_e64 s[38:39], v26, v26                         // 00000000CC24: D0480026 0002351A
	v_add3_u32 v28, v26, v31, 1                                // 00000000CC2C: D1FF001C 02063F1A
	v_cndmask_b32_e64 v20, v28, v30, s[38:39]                  // 00000000CC34: D1000014 009A3D1C
	v_cmp_u_f32_e64 s[38:39], v27, v27                         // 00000000CC3C: D0480026 0002371B
	v_add3_u32 v28, v27, v31, 1                                // 00000000CC44: D1FF001C 02063F1B
	v_cndmask_b32_e64 v21, v28, v30, s[38:39]                  // 00000000CC4C: D1000015 009A3D1C
	v_perm_b32 v25, v21, v20, s51                              // 00000000CC54: D1ED0019 00CE2915
	ds_write_b64 v5, v[24:25] offset:1152                      // 00000000CC5C: D89A0480 00001805
	v_mov_b32_e32 v24, v190                                    // 00000000CC64: 7E3003BE
	v_mov_b32_e32 v25, v194                                    // 00000000CC68: 7E3203C2
	v_mov_b32_e32 v26, v198                                    // 00000000CC6C: 7E3403C6
	v_mov_b32_e32 v27, v202                                    // 00000000CC70: 7E3603CA
	v_mul_f32_e32 v24, s43, v24                                // 00000000CC74: 0A30302B
	v_mul_f32_e32 v25, s43, v25                                // 00000000CC78: 0A32322B
	v_mul_f32_e32 v26, s43, v26                                // 00000000CC7C: 0A34342B
	v_mul_f32_e32 v27, s43, v27                                // 00000000CC80: 0A36362B
	v_cmp_u_f32_e64 s[38:39], v24, v24                         // 00000000CC84: D0480026 00023118
	v_add3_u32 v28, v24, v31, 1                                // 00000000CC8C: D1FF001C 02063F18
	v_cndmask_b32_e64 v20, v28, v30, s[38:39]                  // 00000000CC94: D1000014 009A3D1C
	v_cmp_u_f32_e64 s[38:39], v25, v25                         // 00000000CC9C: D0480026 00023319
	v_add3_u32 v28, v25, v31, 1                                // 00000000CCA4: D1FF001C 02063F19
	v_cndmask_b32_e64 v21, v28, v30, s[38:39]                  // 00000000CCAC: D1000015 009A3D1C
	v_perm_b32 v24, v21, v20, s51                              // 00000000CCB4: D1ED0018 00CE2915
	v_cmp_u_f32_e64 s[38:39], v26, v26                         // 00000000CCBC: D0480026 0002351A
	v_add3_u32 v28, v26, v31, 1                                // 00000000CCC4: D1FF001C 02063F1A
	v_cndmask_b32_e64 v20, v28, v30, s[38:39]                  // 00000000CCCC: D1000014 009A3D1C
	v_cmp_u_f32_e64 s[38:39], v27, v27                         // 00000000CCD4: D0480026 0002371B
	v_add3_u32 v28, v27, v31, 1                                // 00000000CCDC: D1FF001C 02063F1B
	v_cndmask_b32_e64 v21, v28, v30, s[38:39]                  // 00000000CCE4: D1000015 009A3D1C
	v_perm_b32 v25, v21, v20, s51                              // 00000000CCEC: D1ED0019 00CE2915
	ds_write_b64 v5, v[24:25] offset:144                       // 00000000CCF4: D89A0090 00001805
	v_mov_b32_e32 v24, v191                                    // 00000000CCFC: 7E3003BF
	v_mov_b32_e32 v25, v195                                    // 00000000CD00: 7E3203C3
	v_mov_b32_e32 v26, v199                                    // 00000000CD04: 7E3403C7
	v_mov_b32_e32 v27, v203                                    // 00000000CD08: 7E3603CB
	v_mul_f32_e32 v24, s43, v24                                // 00000000CD0C: 0A30302B
	v_mul_f32_e32 v25, s43, v25                                // 00000000CD10: 0A32322B
	v_mul_f32_e32 v26, s43, v26                                // 00000000CD14: 0A34342B
	v_mul_f32_e32 v27, s43, v27                                // 00000000CD18: 0A36362B
	v_cmp_u_f32_e64 s[38:39], v24, v24                         // 00000000CD1C: D0480026 00023118
	v_add3_u32 v28, v24, v31, 1                                // 00000000CD24: D1FF001C 02063F18
	v_cndmask_b32_e64 v20, v28, v30, s[38:39]                  // 00000000CD2C: D1000014 009A3D1C
	v_cmp_u_f32_e64 s[38:39], v25, v25                         // 00000000CD34: D0480026 00023319
	v_add3_u32 v28, v25, v31, 1                                // 00000000CD3C: D1FF001C 02063F19
	v_cndmask_b32_e64 v21, v28, v30, s[38:39]                  // 00000000CD44: D1000015 009A3D1C
	v_perm_b32 v24, v21, v20, s51                              // 00000000CD4C: D1ED0018 00CE2915
	v_cmp_u_f32_e64 s[38:39], v26, v26                         // 00000000CD54: D0480026 0002351A
	v_add3_u32 v28, v26, v31, 1                                // 00000000CD5C: D1FF001C 02063F1A
	v_cndmask_b32_e64 v20, v28, v30, s[38:39]                  // 00000000CD64: D1000014 009A3D1C
	v_cmp_u_f32_e64 s[38:39], v27, v27                         // 00000000CD6C: D0480026 0002371B
	v_add3_u32 v28, v27, v31, 1                                // 00000000CD74: D1FF001C 02063F1B
	v_cndmask_b32_e64 v21, v28, v30, s[38:39]                  // 00000000CD7C: D1000015 009A3D1C
	v_perm_b32 v25, v21, v20, s51                              // 00000000CD84: D1ED0019 00CE2915
	ds_write_b64 v5, v[24:25] offset:1296                      // 00000000CD8C: D89A0510 00001805
	v_mov_b32_e32 v24, v204                                    // 00000000CD94: 7E3003CC
	v_mov_b32_e32 v25, v208                                    // 00000000CD98: 7E3203D0
	v_mov_b32_e32 v26, v212                                    // 00000000CD9C: 7E3403D4
	v_mov_b32_e32 v27, v216                                    // 00000000CDA0: 7E3603D8
	v_mul_f32_e32 v24, s43, v24                                // 00000000CDA4: 0A30302B
	v_mul_f32_e32 v25, s43, v25                                // 00000000CDA8: 0A32322B
	v_mul_f32_e32 v26, s43, v26                                // 00000000CDAC: 0A34342B
	v_mul_f32_e32 v27, s43, v27                                // 00000000CDB0: 0A36362B
	v_cmp_u_f32_e64 s[38:39], v24, v24                         // 00000000CDB4: D0480026 00023118
	v_add3_u32 v28, v24, v31, 1                                // 00000000CDBC: D1FF001C 02063F18
	v_cndmask_b32_e64 v20, v28, v30, s[38:39]                  // 00000000CDC4: D1000014 009A3D1C
	v_cmp_u_f32_e64 s[38:39], v25, v25                         // 00000000CDCC: D0480026 00023319
	v_add3_u32 v28, v25, v31, 1                                // 00000000CDD4: D1FF001C 02063F19
	v_cndmask_b32_e64 v21, v28, v30, s[38:39]                  // 00000000CDDC: D1000015 009A3D1C
	v_perm_b32 v24, v21, v20, s51                              // 00000000CDE4: D1ED0018 00CE2915
	v_cmp_u_f32_e64 s[38:39], v26, v26                         // 00000000CDEC: D0480026 0002351A
	v_add3_u32 v28, v26, v31, 1                                // 00000000CDF4: D1FF001C 02063F1A
	v_cndmask_b32_e64 v20, v28, v30, s[38:39]                  // 00000000CDFC: D1000014 009A3D1C
	v_cmp_u_f32_e64 s[38:39], v27, v27                         // 00000000CE04: D0480026 0002371B
	v_add3_u32 v28, v27, v31, 1                                // 00000000CE0C: D1FF001C 02063F1B
	v_cndmask_b32_e64 v21, v28, v30, s[38:39]                  // 00000000CE14: D1000015 009A3D1C
	v_perm_b32 v25, v21, v20, s51                              // 00000000CE1C: D1ED0019 00CE2915
	ds_write_b64 v5, v[24:25] offset:2304                      // 00000000CE24: D89A0900 00001805
	v_mov_b32_e32 v24, v205                                    // 00000000CE2C: 7E3003CD
	v_mov_b32_e32 v25, v209                                    // 00000000CE30: 7E3203D1
	v_mov_b32_e32 v26, v213                                    // 00000000CE34: 7E3403D5
	v_mov_b32_e32 v27, v217                                    // 00000000CE38: 7E3603D9
	v_mul_f32_e32 v24, s43, v24                                // 00000000CE3C: 0A30302B
	v_mul_f32_e32 v25, s43, v25                                // 00000000CE40: 0A32322B
	v_mul_f32_e32 v26, s43, v26                                // 00000000CE44: 0A34342B
	v_mul_f32_e32 v27, s43, v27                                // 00000000CE48: 0A36362B
	v_cmp_u_f32_e64 s[38:39], v24, v24                         // 00000000CE4C: D0480026 00023118
	v_add3_u32 v28, v24, v31, 1                                // 00000000CE54: D1FF001C 02063F18
	v_cndmask_b32_e64 v20, v28, v30, s[38:39]                  // 00000000CE5C: D1000014 009A3D1C
	v_cmp_u_f32_e64 s[38:39], v25, v25                         // 00000000CE64: D0480026 00023319
	v_add3_u32 v28, v25, v31, 1                                // 00000000CE6C: D1FF001C 02063F19
	v_cndmask_b32_e64 v21, v28, v30, s[38:39]                  // 00000000CE74: D1000015 009A3D1C
	v_perm_b32 v24, v21, v20, s51                              // 00000000CE7C: D1ED0018 00CE2915
	v_cmp_u_f32_e64 s[38:39], v26, v26                         // 00000000CE84: D0480026 0002351A
	v_add3_u32 v28, v26, v31, 1                                // 00000000CE8C: D1FF001C 02063F1A
	v_cndmask_b32_e64 v20, v28, v30, s[38:39]                  // 00000000CE94: D1000014 009A3D1C
	v_cmp_u_f32_e64 s[38:39], v27, v27                         // 00000000CE9C: D0480026 0002371B
	v_add3_u32 v28, v27, v31, 1                                // 00000000CEA4: D1FF001C 02063F1B
	v_cndmask_b32_e64 v21, v28, v30, s[38:39]                  // 00000000CEAC: D1000015 009A3D1C
	v_perm_b32 v25, v21, v20, s51                              // 00000000CEB4: D1ED0019 00CE2915
	ds_write_b64 v5, v[24:25] offset:3456                      // 00000000CEBC: D89A0D80 00001805
	v_mov_b32_e32 v24, v206                                    // 00000000CEC4: 7E3003CE
	v_mov_b32_e32 v25, v210                                    // 00000000CEC8: 7E3203D2
	v_mov_b32_e32 v26, v214                                    // 00000000CECC: 7E3403D6
	v_mov_b32_e32 v27, v218                                    // 00000000CED0: 7E3603DA
	v_mul_f32_e32 v24, s43, v24                                // 00000000CED4: 0A30302B
	v_mul_f32_e32 v25, s43, v25                                // 00000000CED8: 0A32322B
	v_mul_f32_e32 v26, s43, v26                                // 00000000CEDC: 0A34342B
	v_mul_f32_e32 v27, s43, v27                                // 00000000CEE0: 0A36362B
	v_cmp_u_f32_e64 s[38:39], v24, v24                         // 00000000CEE4: D0480026 00023118
	v_add3_u32 v28, v24, v31, 1                                // 00000000CEEC: D1FF001C 02063F18
	v_cndmask_b32_e64 v20, v28, v30, s[38:39]                  // 00000000CEF4: D1000014 009A3D1C
	v_cmp_u_f32_e64 s[38:39], v25, v25                         // 00000000CEFC: D0480026 00023319
	v_add3_u32 v28, v25, v31, 1                                // 00000000CF04: D1FF001C 02063F19
	v_cndmask_b32_e64 v21, v28, v30, s[38:39]                  // 00000000CF0C: D1000015 009A3D1C
	v_perm_b32 v24, v21, v20, s51                              // 00000000CF14: D1ED0018 00CE2915
	v_cmp_u_f32_e64 s[38:39], v26, v26                         // 00000000CF1C: D0480026 0002351A
	v_add3_u32 v28, v26, v31, 1                                // 00000000CF24: D1FF001C 02063F1A
	v_cndmask_b32_e64 v20, v28, v30, s[38:39]                  // 00000000CF2C: D1000014 009A3D1C
	v_cmp_u_f32_e64 s[38:39], v27, v27                         // 00000000CF34: D0480026 0002371B
	v_add3_u32 v28, v27, v31, 1                                // 00000000CF3C: D1FF001C 02063F1B
	v_cndmask_b32_e64 v21, v28, v30, s[38:39]                  // 00000000CF44: D1000015 009A3D1C
	v_perm_b32 v25, v21, v20, s51                              // 00000000CF4C: D1ED0019 00CE2915
	ds_write_b64 v5, v[24:25] offset:2448                      // 00000000CF54: D89A0990 00001805
	v_mov_b32_e32 v24, v207                                    // 00000000CF5C: 7E3003CF
	v_mov_b32_e32 v25, v211                                    // 00000000CF60: 7E3203D3
	v_mov_b32_e32 v26, v215                                    // 00000000CF64: 7E3403D7
	v_mov_b32_e32 v27, v219                                    // 00000000CF68: 7E3603DB
	v_mul_f32_e32 v24, s43, v24                                // 00000000CF6C: 0A30302B
	v_mul_f32_e32 v25, s43, v25                                // 00000000CF70: 0A32322B
	v_mul_f32_e32 v26, s43, v26                                // 00000000CF74: 0A34342B
	v_mul_f32_e32 v27, s43, v27                                // 00000000CF78: 0A36362B
	v_cmp_u_f32_e64 s[38:39], v24, v24                         // 00000000CF7C: D0480026 00023118
	v_add3_u32 v28, v24, v31, 1                                // 00000000CF84: D1FF001C 02063F18
	v_cndmask_b32_e64 v20, v28, v30, s[38:39]                  // 00000000CF8C: D1000014 009A3D1C
	v_cmp_u_f32_e64 s[38:39], v25, v25                         // 00000000CF94: D0480026 00023319
	v_add3_u32 v28, v25, v31, 1                                // 00000000CF9C: D1FF001C 02063F19
	v_cndmask_b32_e64 v21, v28, v30, s[38:39]                  // 00000000CFA4: D1000015 009A3D1C
	v_perm_b32 v24, v21, v20, s51                              // 00000000CFAC: D1ED0018 00CE2915
	v_cmp_u_f32_e64 s[38:39], v26, v26                         // 00000000CFB4: D0480026 0002351A
	v_add3_u32 v28, v26, v31, 1                                // 00000000CFBC: D1FF001C 02063F1A
	v_cndmask_b32_e64 v20, v28, v30, s[38:39]                  // 00000000CFC4: D1000014 009A3D1C
	v_cmp_u_f32_e64 s[38:39], v27, v27                         // 00000000CFCC: D0480026 0002371B
	v_add3_u32 v28, v27, v31, 1                                // 00000000CFD4: D1FF001C 02063F1B
	v_cndmask_b32_e64 v21, v28, v30, s[38:39]                  // 00000000CFDC: D1000015 009A3D1C
	v_perm_b32 v25, v21, v20, s51                              // 00000000CFE4: D1ED0019 00CE2915
	ds_write_b64 v5, v[24:25] offset:3600                      // 00000000CFEC: D89A0E10 00001805
	s_waitcnt lgkmcnt(4)                                       // 00000000CFF4: BF8CC47F
	ds_read_b64 v[56:57], v4                                   // 00000000CFF8: D8EC0000 38000004
	ds_read_b64 v[60:61], v4 offset:64                         // 00000000D000: D8EC0040 3C000004
	ds_read_b64 v[58:59], v4 offset:1152                       // 00000000D008: D8EC0480 3A000004
	ds_read_b64 v[62:63], v4 offset:1216                       // 00000000D010: D8EC04C0 3E000004
	s_waitcnt lgkmcnt(4)                                       // 00000000D018: BF8CC47F
	ds_read_b64 v[64:65], v4 offset:2304                       // 00000000D01C: D8EC0900 40000004
	ds_read_b64 v[68:69], v4 offset:2368                       // 00000000D024: D8EC0940 44000004
	ds_read_b64 v[66:67], v4 offset:3456                       // 00000000D02C: D8EC0D80 42000004
	ds_read_b64 v[70:71], v4 offset:3520                       // 00000000D034: D8EC0DC0 46000004
	s_waitcnt lgkmcnt(0)                                       // 00000000D03C: BF8CC07F
	v_mov_b32_e32 v18, v19                                     // 00000000D040: 7E240313
	buffer_store_dwordx4 v[56:59], v18, s[88:91], 0 offen offset:256// 00000000D044: E07C1100 80163812
	buffer_store_dwordx4 v[64:67], v18, s[88:91], 0 offen offset:384// 00000000D04C: E07C1180 80164012
	v_add_u32_e32 v18, 0x2000, v18                             // 00000000D054: 682424FF 00002000
	buffer_store_dwordx4 v[60:63], v18, s[88:91], 0 offen offset:256// 00000000D05C: E07C1100 80163C12
	buffer_store_dwordx4 v[68:71], v18, s[88:91], 0 offen offset:384// 00000000D064: E07C1180 80164412
	v_add_u32_e32 v18, 0x2000, v18                             // 00000000D06C: 682424FF 00002000
	v_mov_b32_e32 v24, v220                                    // 00000000D074: 7E3003DC
	v_mov_b32_e32 v25, v224                                    // 00000000D078: 7E3203E0
	v_mov_b32_e32 v26, v228                                    // 00000000D07C: 7E3403E4
	v_mov_b32_e32 v27, v232                                    // 00000000D080: 7E3603E8
	v_mul_f32_e32 v24, s43, v24                                // 00000000D084: 0A30302B
	v_mul_f32_e32 v25, s43, v25                                // 00000000D088: 0A32322B
	v_mul_f32_e32 v26, s43, v26                                // 00000000D08C: 0A34342B
	v_mul_f32_e32 v27, s43, v27                                // 00000000D090: 0A36362B
	v_cmp_u_f32_e64 s[38:39], v24, v24                         // 00000000D094: D0480026 00023118
	v_add3_u32 v28, v24, v31, 1                                // 00000000D09C: D1FF001C 02063F18
	v_cndmask_b32_e64 v20, v28, v30, s[38:39]                  // 00000000D0A4: D1000014 009A3D1C
	v_cmp_u_f32_e64 s[38:39], v25, v25                         // 00000000D0AC: D0480026 00023319
	v_add3_u32 v28, v25, v31, 1                                // 00000000D0B4: D1FF001C 02063F19
	v_cndmask_b32_e64 v21, v28, v30, s[38:39]                  // 00000000D0BC: D1000015 009A3D1C
	v_perm_b32 v24, v21, v20, s51                              // 00000000D0C4: D1ED0018 00CE2915
	v_cmp_u_f32_e64 s[38:39], v26, v26                         // 00000000D0CC: D0480026 0002351A
	v_add3_u32 v28, v26, v31, 1                                // 00000000D0D4: D1FF001C 02063F1A
	v_cndmask_b32_e64 v20, v28, v30, s[38:39]                  // 00000000D0DC: D1000014 009A3D1C
	v_cmp_u_f32_e64 s[38:39], v27, v27                         // 00000000D0E4: D0480026 0002371B
	v_add3_u32 v28, v27, v31, 1                                // 00000000D0EC: D1FF001C 02063F1B
	v_cndmask_b32_e64 v21, v28, v30, s[38:39]                  // 00000000D0F4: D1000015 009A3D1C
	v_perm_b32 v25, v21, v20, s51                              // 00000000D0FC: D1ED0019 00CE2915
	ds_write_b64 v5, v[24:25]                                  // 00000000D104: D89A0000 00001805
	v_mov_b32_e32 v24, v221                                    // 00000000D10C: 7E3003DD
	v_mov_b32_e32 v25, v225                                    // 00000000D110: 7E3203E1
	v_mov_b32_e32 v26, v229                                    // 00000000D114: 7E3403E5
	v_mov_b32_e32 v27, v233                                    // 00000000D118: 7E3603E9
	v_mul_f32_e32 v24, s43, v24                                // 00000000D11C: 0A30302B
	v_mul_f32_e32 v25, s43, v25                                // 00000000D120: 0A32322B
	v_mul_f32_e32 v26, s43, v26                                // 00000000D124: 0A34342B
	v_mul_f32_e32 v27, s43, v27                                // 00000000D128: 0A36362B
	v_cmp_u_f32_e64 s[38:39], v24, v24                         // 00000000D12C: D0480026 00023118
	v_add3_u32 v28, v24, v31, 1                                // 00000000D134: D1FF001C 02063F18
	v_cndmask_b32_e64 v20, v28, v30, s[38:39]                  // 00000000D13C: D1000014 009A3D1C
	v_cmp_u_f32_e64 s[38:39], v25, v25                         // 00000000D144: D0480026 00023319
	v_add3_u32 v28, v25, v31, 1                                // 00000000D14C: D1FF001C 02063F19
	v_cndmask_b32_e64 v21, v28, v30, s[38:39]                  // 00000000D154: D1000015 009A3D1C
	v_perm_b32 v24, v21, v20, s51                              // 00000000D15C: D1ED0018 00CE2915
	v_cmp_u_f32_e64 s[38:39], v26, v26                         // 00000000D164: D0480026 0002351A
	v_add3_u32 v28, v26, v31, 1                                // 00000000D16C: D1FF001C 02063F1A
	v_cndmask_b32_e64 v20, v28, v30, s[38:39]                  // 00000000D174: D1000014 009A3D1C
	v_cmp_u_f32_e64 s[38:39], v27, v27                         // 00000000D17C: D0480026 0002371B
	v_add3_u32 v28, v27, v31, 1                                // 00000000D184: D1FF001C 02063F1B
	v_cndmask_b32_e64 v21, v28, v30, s[38:39]                  // 00000000D18C: D1000015 009A3D1C
	v_perm_b32 v25, v21, v20, s51                              // 00000000D194: D1ED0019 00CE2915
	ds_write_b64 v5, v[24:25] offset:1152                      // 00000000D19C: D89A0480 00001805
	v_mov_b32_e32 v24, v222                                    // 00000000D1A4: 7E3003DE
	v_mov_b32_e32 v25, v226                                    // 00000000D1A8: 7E3203E2
	v_mov_b32_e32 v26, v230                                    // 00000000D1AC: 7E3403E6
	v_mov_b32_e32 v27, v234                                    // 00000000D1B0: 7E3603EA
	v_mul_f32_e32 v24, s43, v24                                // 00000000D1B4: 0A30302B
	v_mul_f32_e32 v25, s43, v25                                // 00000000D1B8: 0A32322B
	v_mul_f32_e32 v26, s43, v26                                // 00000000D1BC: 0A34342B
	v_mul_f32_e32 v27, s43, v27                                // 00000000D1C0: 0A36362B
	v_cmp_u_f32_e64 s[38:39], v24, v24                         // 00000000D1C4: D0480026 00023118
	v_add3_u32 v28, v24, v31, 1                                // 00000000D1CC: D1FF001C 02063F18
	v_cndmask_b32_e64 v20, v28, v30, s[38:39]                  // 00000000D1D4: D1000014 009A3D1C
	v_cmp_u_f32_e64 s[38:39], v25, v25                         // 00000000D1DC: D0480026 00023319
	v_add3_u32 v28, v25, v31, 1                                // 00000000D1E4: D1FF001C 02063F19
	v_cndmask_b32_e64 v21, v28, v30, s[38:39]                  // 00000000D1EC: D1000015 009A3D1C
	v_perm_b32 v24, v21, v20, s51                              // 00000000D1F4: D1ED0018 00CE2915
	v_cmp_u_f32_e64 s[38:39], v26, v26                         // 00000000D1FC: D0480026 0002351A
	v_add3_u32 v28, v26, v31, 1                                // 00000000D204: D1FF001C 02063F1A
	v_cndmask_b32_e64 v20, v28, v30, s[38:39]                  // 00000000D20C: D1000014 009A3D1C
	v_cmp_u_f32_e64 s[38:39], v27, v27                         // 00000000D214: D0480026 0002371B
	v_add3_u32 v28, v27, v31, 1                                // 00000000D21C: D1FF001C 02063F1B
	v_cndmask_b32_e64 v21, v28, v30, s[38:39]                  // 00000000D224: D1000015 009A3D1C
	v_perm_b32 v25, v21, v20, s51                              // 00000000D22C: D1ED0019 00CE2915
	ds_write_b64 v5, v[24:25] offset:144                       // 00000000D234: D89A0090 00001805
	v_mov_b32_e32 v24, v223                                    // 00000000D23C: 7E3003DF
	v_mov_b32_e32 v25, v227                                    // 00000000D240: 7E3203E3
	v_mov_b32_e32 v26, v231                                    // 00000000D244: 7E3403E7
	v_mov_b32_e32 v27, v235                                    // 00000000D248: 7E3603EB
	v_mul_f32_e32 v24, s43, v24                                // 00000000D24C: 0A30302B
	v_mul_f32_e32 v25, s43, v25                                // 00000000D250: 0A32322B
	v_mul_f32_e32 v26, s43, v26                                // 00000000D254: 0A34342B
	v_mul_f32_e32 v27, s43, v27                                // 00000000D258: 0A36362B
	v_cmp_u_f32_e64 s[38:39], v24, v24                         // 00000000D25C: D0480026 00023118
	v_add3_u32 v28, v24, v31, 1                                // 00000000D264: D1FF001C 02063F18
	v_cndmask_b32_e64 v20, v28, v30, s[38:39]                  // 00000000D26C: D1000014 009A3D1C
	v_cmp_u_f32_e64 s[38:39], v25, v25                         // 00000000D274: D0480026 00023319
	v_add3_u32 v28, v25, v31, 1                                // 00000000D27C: D1FF001C 02063F19
	v_cndmask_b32_e64 v21, v28, v30, s[38:39]                  // 00000000D284: D1000015 009A3D1C
	v_perm_b32 v24, v21, v20, s51                              // 00000000D28C: D1ED0018 00CE2915
	v_cmp_u_f32_e64 s[38:39], v26, v26                         // 00000000D294: D0480026 0002351A
	v_add3_u32 v28, v26, v31, 1                                // 00000000D29C: D1FF001C 02063F1A
	v_cndmask_b32_e64 v20, v28, v30, s[38:39]                  // 00000000D2A4: D1000014 009A3D1C
	v_cmp_u_f32_e64 s[38:39], v27, v27                         // 00000000D2AC: D0480026 0002371B
	v_add3_u32 v28, v27, v31, 1                                // 00000000D2B4: D1FF001C 02063F1B
	v_cndmask_b32_e64 v21, v28, v30, s[38:39]                  // 00000000D2BC: D1000015 009A3D1C
	v_perm_b32 v25, v21, v20, s51                              // 00000000D2C4: D1ED0019 00CE2915
	ds_write_b64 v5, v[24:25] offset:1296                      // 00000000D2CC: D89A0510 00001805
	v_mov_b32_e32 v24, v236                                    // 00000000D2D4: 7E3003EC
	v_mov_b32_e32 v25, v240                                    // 00000000D2D8: 7E3203F0
	v_mov_b32_e32 v26, v244                                    // 00000000D2DC: 7E3403F4
	v_mov_b32_e32 v27, v248                                    // 00000000D2E0: 7E3603F8
	v_mul_f32_e32 v24, s43, v24                                // 00000000D2E4: 0A30302B
	v_mul_f32_e32 v25, s43, v25                                // 00000000D2E8: 0A32322B
	v_mul_f32_e32 v26, s43, v26                                // 00000000D2EC: 0A34342B
	v_mul_f32_e32 v27, s43, v27                                // 00000000D2F0: 0A36362B
	v_cmp_u_f32_e64 s[38:39], v24, v24                         // 00000000D2F4: D0480026 00023118
	v_add3_u32 v28, v24, v31, 1                                // 00000000D2FC: D1FF001C 02063F18
	v_cndmask_b32_e64 v20, v28, v30, s[38:39]                  // 00000000D304: D1000014 009A3D1C
	v_cmp_u_f32_e64 s[38:39], v25, v25                         // 00000000D30C: D0480026 00023319
	v_add3_u32 v28, v25, v31, 1                                // 00000000D314: D1FF001C 02063F19
	v_cndmask_b32_e64 v21, v28, v30, s[38:39]                  // 00000000D31C: D1000015 009A3D1C
	v_perm_b32 v24, v21, v20, s51                              // 00000000D324: D1ED0018 00CE2915
	v_cmp_u_f32_e64 s[38:39], v26, v26                         // 00000000D32C: D0480026 0002351A
	v_add3_u32 v28, v26, v31, 1                                // 00000000D334: D1FF001C 02063F1A
	v_cndmask_b32_e64 v20, v28, v30, s[38:39]                  // 00000000D33C: D1000014 009A3D1C
	v_cmp_u_f32_e64 s[38:39], v27, v27                         // 00000000D344: D0480026 0002371B
	v_add3_u32 v28, v27, v31, 1                                // 00000000D34C: D1FF001C 02063F1B
	v_cndmask_b32_e64 v21, v28, v30, s[38:39]                  // 00000000D354: D1000015 009A3D1C
	v_perm_b32 v25, v21, v20, s51                              // 00000000D35C: D1ED0019 00CE2915
	ds_write_b64 v5, v[24:25] offset:2304                      // 00000000D364: D89A0900 00001805
	v_mov_b32_e32 v24, v237                                    // 00000000D36C: 7E3003ED
	v_mov_b32_e32 v25, v241                                    // 00000000D370: 7E3203F1
	v_mov_b32_e32 v26, v245                                    // 00000000D374: 7E3403F5
	v_mov_b32_e32 v27, v249                                    // 00000000D378: 7E3603F9
	v_mul_f32_e32 v24, s43, v24                                // 00000000D37C: 0A30302B
	v_mul_f32_e32 v25, s43, v25                                // 00000000D380: 0A32322B
	v_mul_f32_e32 v26, s43, v26                                // 00000000D384: 0A34342B
	v_mul_f32_e32 v27, s43, v27                                // 00000000D388: 0A36362B
	v_cmp_u_f32_e64 s[38:39], v24, v24                         // 00000000D38C: D0480026 00023118
	v_add3_u32 v28, v24, v31, 1                                // 00000000D394: D1FF001C 02063F18
	v_cndmask_b32_e64 v20, v28, v30, s[38:39]                  // 00000000D39C: D1000014 009A3D1C
	v_cmp_u_f32_e64 s[38:39], v25, v25                         // 00000000D3A4: D0480026 00023319
	v_add3_u32 v28, v25, v31, 1                                // 00000000D3AC: D1FF001C 02063F19
	v_cndmask_b32_e64 v21, v28, v30, s[38:39]                  // 00000000D3B4: D1000015 009A3D1C
	v_perm_b32 v24, v21, v20, s51                              // 00000000D3BC: D1ED0018 00CE2915
	v_cmp_u_f32_e64 s[38:39], v26, v26                         // 00000000D3C4: D0480026 0002351A
	v_add3_u32 v28, v26, v31, 1                                // 00000000D3CC: D1FF001C 02063F1A
	v_cndmask_b32_e64 v20, v28, v30, s[38:39]                  // 00000000D3D4: D1000014 009A3D1C
	v_cmp_u_f32_e64 s[38:39], v27, v27                         // 00000000D3DC: D0480026 0002371B
	v_add3_u32 v28, v27, v31, 1                                // 00000000D3E4: D1FF001C 02063F1B
	v_cndmask_b32_e64 v21, v28, v30, s[38:39]                  // 00000000D3EC: D1000015 009A3D1C
	v_perm_b32 v25, v21, v20, s51                              // 00000000D3F4: D1ED0019 00CE2915
	ds_write_b64 v5, v[24:25] offset:3456                      // 00000000D3FC: D89A0D80 00001805
	v_mov_b32_e32 v24, v238                                    // 00000000D404: 7E3003EE
	v_mov_b32_e32 v25, v242                                    // 00000000D408: 7E3203F2
	v_mov_b32_e32 v26, v246                                    // 00000000D40C: 7E3403F6
	v_mov_b32_e32 v27, v250                                    // 00000000D410: 7E3603FA
	v_mul_f32_e32 v24, s43, v24                                // 00000000D414: 0A30302B
	v_mul_f32_e32 v25, s43, v25                                // 00000000D418: 0A32322B
	v_mul_f32_e32 v26, s43, v26                                // 00000000D41C: 0A34342B
	v_mul_f32_e32 v27, s43, v27                                // 00000000D420: 0A36362B
	v_cmp_u_f32_e64 s[38:39], v24, v24                         // 00000000D424: D0480026 00023118
	v_add3_u32 v28, v24, v31, 1                                // 00000000D42C: D1FF001C 02063F18
	v_cndmask_b32_e64 v20, v28, v30, s[38:39]                  // 00000000D434: D1000014 009A3D1C
	v_cmp_u_f32_e64 s[38:39], v25, v25                         // 00000000D43C: D0480026 00023319
	v_add3_u32 v28, v25, v31, 1                                // 00000000D444: D1FF001C 02063F19
	v_cndmask_b32_e64 v21, v28, v30, s[38:39]                  // 00000000D44C: D1000015 009A3D1C
	v_perm_b32 v24, v21, v20, s51                              // 00000000D454: D1ED0018 00CE2915
	v_cmp_u_f32_e64 s[38:39], v26, v26                         // 00000000D45C: D0480026 0002351A
	v_add3_u32 v28, v26, v31, 1                                // 00000000D464: D1FF001C 02063F1A
	v_cndmask_b32_e64 v20, v28, v30, s[38:39]                  // 00000000D46C: D1000014 009A3D1C
	v_cmp_u_f32_e64 s[38:39], v27, v27                         // 00000000D474: D0480026 0002371B
	v_add3_u32 v28, v27, v31, 1                                // 00000000D47C: D1FF001C 02063F1B
	v_cndmask_b32_e64 v21, v28, v30, s[38:39]                  // 00000000D484: D1000015 009A3D1C
	v_perm_b32 v25, v21, v20, s51                              // 00000000D48C: D1ED0019 00CE2915
	ds_write_b64 v5, v[24:25] offset:2448                      // 00000000D494: D89A0990 00001805
	v_mov_b32_e32 v24, v239                                    // 00000000D49C: 7E3003EF
	v_mov_b32_e32 v25, v243                                    // 00000000D4A0: 7E3203F3
	v_mov_b32_e32 v26, v247                                    // 00000000D4A4: 7E3403F7
	v_mov_b32_e32 v27, v251                                    // 00000000D4A8: 7E3603FB
	v_mul_f32_e32 v24, s43, v24                                // 00000000D4AC: 0A30302B
	v_mul_f32_e32 v25, s43, v25                                // 00000000D4B0: 0A32322B
	v_mul_f32_e32 v26, s43, v26                                // 00000000D4B4: 0A34342B
	v_mul_f32_e32 v27, s43, v27                                // 00000000D4B8: 0A36362B
	v_cmp_u_f32_e64 s[38:39], v24, v24                         // 00000000D4BC: D0480026 00023118
	v_add3_u32 v28, v24, v31, 1                                // 00000000D4C4: D1FF001C 02063F18
	v_cndmask_b32_e64 v20, v28, v30, s[38:39]                  // 00000000D4CC: D1000014 009A3D1C
	v_cmp_u_f32_e64 s[38:39], v25, v25                         // 00000000D4D4: D0480026 00023319
	v_add3_u32 v28, v25, v31, 1                                // 00000000D4DC: D1FF001C 02063F19
	v_cndmask_b32_e64 v21, v28, v30, s[38:39]                  // 00000000D4E4: D1000015 009A3D1C
	v_perm_b32 v24, v21, v20, s51                              // 00000000D4EC: D1ED0018 00CE2915
	v_cmp_u_f32_e64 s[38:39], v26, v26                         // 00000000D4F4: D0480026 0002351A
	v_add3_u32 v28, v26, v31, 1                                // 00000000D4FC: D1FF001C 02063F1A
	v_cndmask_b32_e64 v20, v28, v30, s[38:39]                  // 00000000D504: D1000014 009A3D1C
	v_cmp_u_f32_e64 s[38:39], v27, v27                         // 00000000D50C: D0480026 0002371B
	v_add3_u32 v28, v27, v31, 1                                // 00000000D514: D1FF001C 02063F1B
	v_cndmask_b32_e64 v21, v28, v30, s[38:39]                  // 00000000D51C: D1000015 009A3D1C
	v_perm_b32 v25, v21, v20, s51                              // 00000000D524: D1ED0019 00CE2915
	ds_write_b64 v5, v[24:25] offset:3600                      // 00000000D52C: D89A0E10 00001805
	s_waitcnt lgkmcnt(4)                                       // 00000000D534: BF8CC47F
	ds_read_b64 v[56:57], v4                                   // 00000000D538: D8EC0000 38000004
	ds_read_b64 v[60:61], v4 offset:64                         // 00000000D540: D8EC0040 3C000004
	ds_read_b64 v[58:59], v4 offset:1152                       // 00000000D548: D8EC0480 3A000004
	ds_read_b64 v[62:63], v4 offset:1216                       // 00000000D550: D8EC04C0 3E000004
	s_waitcnt lgkmcnt(4)                                       // 00000000D558: BF8CC47F
	ds_read_b64 v[64:65], v4 offset:2304                       // 00000000D55C: D8EC0900 40000004
	ds_read_b64 v[68:69], v4 offset:2368                       // 00000000D564: D8EC0940 44000004
	ds_read_b64 v[66:67], v4 offset:3456                       // 00000000D56C: D8EC0D80 42000004
	ds_read_b64 v[70:71], v4 offset:3520                       // 00000000D574: D8EC0DC0 46000004
	s_waitcnt lgkmcnt(0)                                       // 00000000D57C: BF8CC07F
	v_mov_b32_e32 v18, v19                                     // 00000000D580: 7E240313
	buffer_store_dwordx4 v[56:59], v18, s[88:91], 0 offen offset:512// 00000000D584: E07C1200 80163812
	buffer_store_dwordx4 v[64:67], v18, s[88:91], 0 offen offset:640// 00000000D58C: E07C1280 80164012
	v_add_u32_e32 v18, 0x2000, v18                             // 00000000D594: 682424FF 00002000
	buffer_store_dwordx4 v[60:63], v18, s[88:91], 0 offen offset:512// 00000000D59C: E07C1200 80163C12
	buffer_store_dwordx4 v[68:71], v18, s[88:91], 0 offen offset:640// 00000000D5A4: E07C1280 80164412
	v_add_u32_e32 v18, 0x2000, v18                             // 00000000D5AC: 682424FF 00002000
	v_mov_b32_e32 v24, v252                                    // 00000000D5B4: 7E3003FC
	v_accvgpr_read_b32 v25, a172                               // 00000000D5B8: D3D84019 180001AC
	v_accvgpr_read_b32 v26, a176                               // 00000000D5C0: D3D8401A 180001B0
	v_accvgpr_read_b32 v27, a180                               // 00000000D5C8: D3D8401B 180001B4
	v_mul_f32_e32 v24, s43, v24                                // 00000000D5D0: 0A30302B
	v_mul_f32_e32 v25, s43, v25                                // 00000000D5D4: 0A32322B
	v_mul_f32_e32 v26, s43, v26                                // 00000000D5D8: 0A34342B
	v_mul_f32_e32 v27, s43, v27                                // 00000000D5DC: 0A36362B
	v_cmp_u_f32_e64 s[38:39], v24, v24                         // 00000000D5E0: D0480026 00023118
	v_add3_u32 v28, v24, v31, 1                                // 00000000D5E8: D1FF001C 02063F18
	v_cndmask_b32_e64 v20, v28, v30, s[38:39]                  // 00000000D5F0: D1000014 009A3D1C
	v_cmp_u_f32_e64 s[38:39], v25, v25                         // 00000000D5F8: D0480026 00023319
	v_add3_u32 v28, v25, v31, 1                                // 00000000D600: D1FF001C 02063F19
	v_cndmask_b32_e64 v21, v28, v30, s[38:39]                  // 00000000D608: D1000015 009A3D1C
	v_perm_b32 v24, v21, v20, s51                              // 00000000D610: D1ED0018 00CE2915
	v_cmp_u_f32_e64 s[38:39], v26, v26                         // 00000000D618: D0480026 0002351A
	v_add3_u32 v28, v26, v31, 1                                // 00000000D620: D1FF001C 02063F1A
	v_cndmask_b32_e64 v20, v28, v30, s[38:39]                  // 00000000D628: D1000014 009A3D1C
	v_cmp_u_f32_e64 s[38:39], v27, v27                         // 00000000D630: D0480026 0002371B
	v_add3_u32 v28, v27, v31, 1                                // 00000000D638: D1FF001C 02063F1B
	v_cndmask_b32_e64 v21, v28, v30, s[38:39]                  // 00000000D640: D1000015 009A3D1C
	v_perm_b32 v25, v21, v20, s51                              // 00000000D648: D1ED0019 00CE2915
	ds_write_b64 v5, v[24:25]                                  // 00000000D650: D89A0000 00001805
	v_mov_b32_e32 v24, v253                                    // 00000000D658: 7E3003FD
	v_accvgpr_read_b32 v25, a173                               // 00000000D65C: D3D84019 180001AD
	v_accvgpr_read_b32 v26, a177                               // 00000000D664: D3D8401A 180001B1
	v_accvgpr_read_b32 v27, a181                               // 00000000D66C: D3D8401B 180001B5
	v_mul_f32_e32 v24, s43, v24                                // 00000000D674: 0A30302B
	v_mul_f32_e32 v25, s43, v25                                // 00000000D678: 0A32322B
	v_mul_f32_e32 v26, s43, v26                                // 00000000D67C: 0A34342B
	v_mul_f32_e32 v27, s43, v27                                // 00000000D680: 0A36362B
	v_cmp_u_f32_e64 s[38:39], v24, v24                         // 00000000D684: D0480026 00023118
	v_add3_u32 v28, v24, v31, 1                                // 00000000D68C: D1FF001C 02063F18
	v_cndmask_b32_e64 v20, v28, v30, s[38:39]                  // 00000000D694: D1000014 009A3D1C
	v_cmp_u_f32_e64 s[38:39], v25, v25                         // 00000000D69C: D0480026 00023319
	v_add3_u32 v28, v25, v31, 1                                // 00000000D6A4: D1FF001C 02063F19
	v_cndmask_b32_e64 v21, v28, v30, s[38:39]                  // 00000000D6AC: D1000015 009A3D1C
	v_perm_b32 v24, v21, v20, s51                              // 00000000D6B4: D1ED0018 00CE2915
	v_cmp_u_f32_e64 s[38:39], v26, v26                         // 00000000D6BC: D0480026 0002351A
	v_add3_u32 v28, v26, v31, 1                                // 00000000D6C4: D1FF001C 02063F1A
	v_cndmask_b32_e64 v20, v28, v30, s[38:39]                  // 00000000D6CC: D1000014 009A3D1C
	v_cmp_u_f32_e64 s[38:39], v27, v27                         // 00000000D6D4: D0480026 0002371B
	v_add3_u32 v28, v27, v31, 1                                // 00000000D6DC: D1FF001C 02063F1B
	v_cndmask_b32_e64 v21, v28, v30, s[38:39]                  // 00000000D6E4: D1000015 009A3D1C
	v_perm_b32 v25, v21, v20, s51                              // 00000000D6EC: D1ED0019 00CE2915
	ds_write_b64 v5, v[24:25] offset:1152                      // 00000000D6F4: D89A0480 00001805
	v_mov_b32_e32 v24, v254                                    // 00000000D6FC: 7E3003FE
	v_accvgpr_read_b32 v25, a174                               // 00000000D700: D3D84019 180001AE
	v_accvgpr_read_b32 v26, a178                               // 00000000D708: D3D8401A 180001B2
	v_accvgpr_read_b32 v27, a182                               // 00000000D710: D3D8401B 180001B6
	v_mul_f32_e32 v24, s43, v24                                // 00000000D718: 0A30302B
	v_mul_f32_e32 v25, s43, v25                                // 00000000D71C: 0A32322B
	v_mul_f32_e32 v26, s43, v26                                // 00000000D720: 0A34342B
	v_mul_f32_e32 v27, s43, v27                                // 00000000D724: 0A36362B
	v_cmp_u_f32_e64 s[38:39], v24, v24                         // 00000000D728: D0480026 00023118
	v_add3_u32 v28, v24, v31, 1                                // 00000000D730: D1FF001C 02063F18
	v_cndmask_b32_e64 v20, v28, v30, s[38:39]                  // 00000000D738: D1000014 009A3D1C
	v_cmp_u_f32_e64 s[38:39], v25, v25                         // 00000000D740: D0480026 00023319
	v_add3_u32 v28, v25, v31, 1                                // 00000000D748: D1FF001C 02063F19
	v_cndmask_b32_e64 v21, v28, v30, s[38:39]                  // 00000000D750: D1000015 009A3D1C
	v_perm_b32 v24, v21, v20, s51                              // 00000000D758: D1ED0018 00CE2915
	v_cmp_u_f32_e64 s[38:39], v26, v26                         // 00000000D760: D0480026 0002351A
	v_add3_u32 v28, v26, v31, 1                                // 00000000D768: D1FF001C 02063F1A
	v_cndmask_b32_e64 v20, v28, v30, s[38:39]                  // 00000000D770: D1000014 009A3D1C
	v_cmp_u_f32_e64 s[38:39], v27, v27                         // 00000000D778: D0480026 0002371B
	v_add3_u32 v28, v27, v31, 1                                // 00000000D780: D1FF001C 02063F1B
	v_cndmask_b32_e64 v21, v28, v30, s[38:39]                  // 00000000D788: D1000015 009A3D1C
	v_perm_b32 v25, v21, v20, s51                              // 00000000D790: D1ED0019 00CE2915
	ds_write_b64 v5, v[24:25] offset:144                       // 00000000D798: D89A0090 00001805
	v_mov_b32_e32 v24, v255                                    // 00000000D7A0: 7E3003FF
	v_accvgpr_read_b32 v25, a175                               // 00000000D7A4: D3D84019 180001AF
	v_accvgpr_read_b32 v26, a179                               // 00000000D7AC: D3D8401A 180001B3
	v_accvgpr_read_b32 v27, a183                               // 00000000D7B4: D3D8401B 180001B7
	v_mul_f32_e32 v24, s43, v24                                // 00000000D7BC: 0A30302B
	v_mul_f32_e32 v25, s43, v25                                // 00000000D7C0: 0A32322B
	v_mul_f32_e32 v26, s43, v26                                // 00000000D7C4: 0A34342B
	v_mul_f32_e32 v27, s43, v27                                // 00000000D7C8: 0A36362B
	v_cmp_u_f32_e64 s[38:39], v24, v24                         // 00000000D7CC: D0480026 00023118
	v_add3_u32 v28, v24, v31, 1                                // 00000000D7D4: D1FF001C 02063F18
	v_cndmask_b32_e64 v20, v28, v30, s[38:39]                  // 00000000D7DC: D1000014 009A3D1C
	v_cmp_u_f32_e64 s[38:39], v25, v25                         // 00000000D7E4: D0480026 00023319
	v_add3_u32 v28, v25, v31, 1                                // 00000000D7EC: D1FF001C 02063F19
	v_cndmask_b32_e64 v21, v28, v30, s[38:39]                  // 00000000D7F4: D1000015 009A3D1C
	v_perm_b32 v24, v21, v20, s51                              // 00000000D7FC: D1ED0018 00CE2915
	v_cmp_u_f32_e64 s[38:39], v26, v26                         // 00000000D804: D0480026 0002351A
	v_add3_u32 v28, v26, v31, 1                                // 00000000D80C: D1FF001C 02063F1A
	v_cndmask_b32_e64 v20, v28, v30, s[38:39]                  // 00000000D814: D1000014 009A3D1C
	v_cmp_u_f32_e64 s[38:39], v27, v27                         // 00000000D81C: D0480026 0002371B
	v_add3_u32 v28, v27, v31, 1                                // 00000000D824: D1FF001C 02063F1B
	v_cndmask_b32_e64 v21, v28, v30, s[38:39]                  // 00000000D82C: D1000015 009A3D1C
	v_perm_b32 v25, v21, v20, s51                              // 00000000D834: D1ED0019 00CE2915
	ds_write_b64 v5, v[24:25] offset:1296                      // 00000000D83C: D89A0510 00001805
	v_accvgpr_read_b32 v24, a184                               // 00000000D844: D3D84018 180001B8
	v_accvgpr_read_b32 v25, a188                               // 00000000D84C: D3D84019 180001BC
	v_accvgpr_read_b32 v26, a192                               // 00000000D854: D3D8401A 180001C0
	v_accvgpr_read_b32 v27, a196                               // 00000000D85C: D3D8401B 180001C4
	v_mul_f32_e32 v24, s43, v24                                // 00000000D864: 0A30302B
	v_mul_f32_e32 v25, s43, v25                                // 00000000D868: 0A32322B
	v_mul_f32_e32 v26, s43, v26                                // 00000000D86C: 0A34342B
	v_mul_f32_e32 v27, s43, v27                                // 00000000D870: 0A36362B
	v_cmp_u_f32_e64 s[38:39], v24, v24                         // 00000000D874: D0480026 00023118
	v_add3_u32 v28, v24, v31, 1                                // 00000000D87C: D1FF001C 02063F18
	v_cndmask_b32_e64 v20, v28, v30, s[38:39]                  // 00000000D884: D1000014 009A3D1C
	v_cmp_u_f32_e64 s[38:39], v25, v25                         // 00000000D88C: D0480026 00023319
	v_add3_u32 v28, v25, v31, 1                                // 00000000D894: D1FF001C 02063F19
	v_cndmask_b32_e64 v21, v28, v30, s[38:39]                  // 00000000D89C: D1000015 009A3D1C
	v_perm_b32 v24, v21, v20, s51                              // 00000000D8A4: D1ED0018 00CE2915
	v_cmp_u_f32_e64 s[38:39], v26, v26                         // 00000000D8AC: D0480026 0002351A
	v_add3_u32 v28, v26, v31, 1                                // 00000000D8B4: D1FF001C 02063F1A
	v_cndmask_b32_e64 v20, v28, v30, s[38:39]                  // 00000000D8BC: D1000014 009A3D1C
	v_cmp_u_f32_e64 s[38:39], v27, v27                         // 00000000D8C4: D0480026 0002371B
	v_add3_u32 v28, v27, v31, 1                                // 00000000D8CC: D1FF001C 02063F1B
	v_cndmask_b32_e64 v21, v28, v30, s[38:39]                  // 00000000D8D4: D1000015 009A3D1C
	v_perm_b32 v25, v21, v20, s51                              // 00000000D8DC: D1ED0019 00CE2915
	ds_write_b64 v5, v[24:25] offset:2304                      // 00000000D8E4: D89A0900 00001805
	v_accvgpr_read_b32 v24, a185                               // 00000000D8EC: D3D84018 180001B9
	v_accvgpr_read_b32 v25, a189                               // 00000000D8F4: D3D84019 180001BD
	v_accvgpr_read_b32 v26, a193                               // 00000000D8FC: D3D8401A 180001C1
	v_accvgpr_read_b32 v27, a197                               // 00000000D904: D3D8401B 180001C5
	v_mul_f32_e32 v24, s43, v24                                // 00000000D90C: 0A30302B
	v_mul_f32_e32 v25, s43, v25                                // 00000000D910: 0A32322B
	v_mul_f32_e32 v26, s43, v26                                // 00000000D914: 0A34342B
	v_mul_f32_e32 v27, s43, v27                                // 00000000D918: 0A36362B
	v_cmp_u_f32_e64 s[38:39], v24, v24                         // 00000000D91C: D0480026 00023118
	v_add3_u32 v28, v24, v31, 1                                // 00000000D924: D1FF001C 02063F18
	v_cndmask_b32_e64 v20, v28, v30, s[38:39]                  // 00000000D92C: D1000014 009A3D1C
	v_cmp_u_f32_e64 s[38:39], v25, v25                         // 00000000D934: D0480026 00023319
	v_add3_u32 v28, v25, v31, 1                                // 00000000D93C: D1FF001C 02063F19
	v_cndmask_b32_e64 v21, v28, v30, s[38:39]                  // 00000000D944: D1000015 009A3D1C
	v_perm_b32 v24, v21, v20, s51                              // 00000000D94C: D1ED0018 00CE2915
	v_cmp_u_f32_e64 s[38:39], v26, v26                         // 00000000D954: D0480026 0002351A
	v_add3_u32 v28, v26, v31, 1                                // 00000000D95C: D1FF001C 02063F1A
	v_cndmask_b32_e64 v20, v28, v30, s[38:39]                  // 00000000D964: D1000014 009A3D1C
	v_cmp_u_f32_e64 s[38:39], v27, v27                         // 00000000D96C: D0480026 0002371B
	v_add3_u32 v28, v27, v31, 1                                // 00000000D974: D1FF001C 02063F1B
	v_cndmask_b32_e64 v21, v28, v30, s[38:39]                  // 00000000D97C: D1000015 009A3D1C
	v_perm_b32 v25, v21, v20, s51                              // 00000000D984: D1ED0019 00CE2915
	ds_write_b64 v5, v[24:25] offset:3456                      // 00000000D98C: D89A0D80 00001805
	v_accvgpr_read_b32 v24, a186                               // 00000000D994: D3D84018 180001BA
	v_accvgpr_read_b32 v25, a190                               // 00000000D99C: D3D84019 180001BE
	v_accvgpr_read_b32 v26, a194                               // 00000000D9A4: D3D8401A 180001C2
	v_accvgpr_read_b32 v27, a198                               // 00000000D9AC: D3D8401B 180001C6
	v_mul_f32_e32 v24, s43, v24                                // 00000000D9B4: 0A30302B
	v_mul_f32_e32 v25, s43, v25                                // 00000000D9B8: 0A32322B
	v_mul_f32_e32 v26, s43, v26                                // 00000000D9BC: 0A34342B
	v_mul_f32_e32 v27, s43, v27                                // 00000000D9C0: 0A36362B
	v_cmp_u_f32_e64 s[38:39], v24, v24                         // 00000000D9C4: D0480026 00023118
	v_add3_u32 v28, v24, v31, 1                                // 00000000D9CC: D1FF001C 02063F18
	v_cndmask_b32_e64 v20, v28, v30, s[38:39]                  // 00000000D9D4: D1000014 009A3D1C
	v_cmp_u_f32_e64 s[38:39], v25, v25                         // 00000000D9DC: D0480026 00023319
	v_add3_u32 v28, v25, v31, 1                                // 00000000D9E4: D1FF001C 02063F19
	v_cndmask_b32_e64 v21, v28, v30, s[38:39]                  // 00000000D9EC: D1000015 009A3D1C
	v_perm_b32 v24, v21, v20, s51                              // 00000000D9F4: D1ED0018 00CE2915
	v_cmp_u_f32_e64 s[38:39], v26, v26                         // 00000000D9FC: D0480026 0002351A
	v_add3_u32 v28, v26, v31, 1                                // 00000000DA04: D1FF001C 02063F1A
	v_cndmask_b32_e64 v20, v28, v30, s[38:39]                  // 00000000DA0C: D1000014 009A3D1C
	v_cmp_u_f32_e64 s[38:39], v27, v27                         // 00000000DA14: D0480026 0002371B
	v_add3_u32 v28, v27, v31, 1                                // 00000000DA1C: D1FF001C 02063F1B
	v_cndmask_b32_e64 v21, v28, v30, s[38:39]                  // 00000000DA24: D1000015 009A3D1C
	v_perm_b32 v25, v21, v20, s51                              // 00000000DA2C: D1ED0019 00CE2915
	ds_write_b64 v5, v[24:25] offset:2448                      // 00000000DA34: D89A0990 00001805
	v_accvgpr_read_b32 v24, a187                               // 00000000DA3C: D3D84018 180001BB
	v_accvgpr_read_b32 v25, a191                               // 00000000DA44: D3D84019 180001BF
	v_accvgpr_read_b32 v26, a195                               // 00000000DA4C: D3D8401A 180001C3
	v_accvgpr_read_b32 v27, a199                               // 00000000DA54: D3D8401B 180001C7
	v_mul_f32_e32 v24, s43, v24                                // 00000000DA5C: 0A30302B
	v_mul_f32_e32 v25, s43, v25                                // 00000000DA60: 0A32322B
	v_mul_f32_e32 v26, s43, v26                                // 00000000DA64: 0A34342B
	v_mul_f32_e32 v27, s43, v27                                // 00000000DA68: 0A36362B
	v_cmp_u_f32_e64 s[38:39], v24, v24                         // 00000000DA6C: D0480026 00023118
	v_add3_u32 v28, v24, v31, 1                                // 00000000DA74: D1FF001C 02063F18
	v_cndmask_b32_e64 v20, v28, v30, s[38:39]                  // 00000000DA7C: D1000014 009A3D1C
	v_cmp_u_f32_e64 s[38:39], v25, v25                         // 00000000DA84: D0480026 00023319
	v_add3_u32 v28, v25, v31, 1                                // 00000000DA8C: D1FF001C 02063F19
	v_cndmask_b32_e64 v21, v28, v30, s[38:39]                  // 00000000DA94: D1000015 009A3D1C
	v_perm_b32 v24, v21, v20, s51                              // 00000000DA9C: D1ED0018 00CE2915
	v_cmp_u_f32_e64 s[38:39], v26, v26                         // 00000000DAA4: D0480026 0002351A
	v_add3_u32 v28, v26, v31, 1                                // 00000000DAAC: D1FF001C 02063F1A
	v_cndmask_b32_e64 v20, v28, v30, s[38:39]                  // 00000000DAB4: D1000014 009A3D1C
	v_cmp_u_f32_e64 s[38:39], v27, v27                         // 00000000DABC: D0480026 0002371B
	v_add3_u32 v28, v27, v31, 1                                // 00000000DAC4: D1FF001C 02063F1B
	v_cndmask_b32_e64 v21, v28, v30, s[38:39]                  // 00000000DACC: D1000015 009A3D1C
	v_perm_b32 v25, v21, v20, s51                              // 00000000DAD4: D1ED0019 00CE2915
	ds_write_b64 v5, v[24:25] offset:3600                      // 00000000DADC: D89A0E10 00001805
	s_waitcnt lgkmcnt(4)                                       // 00000000DAE4: BF8CC47F
	ds_read_b64 v[56:57], v4                                   // 00000000DAE8: D8EC0000 38000004
	ds_read_b64 v[60:61], v4 offset:64                         // 00000000DAF0: D8EC0040 3C000004
	ds_read_b64 v[58:59], v4 offset:1152                       // 00000000DAF8: D8EC0480 3A000004
	ds_read_b64 v[62:63], v4 offset:1216                       // 00000000DB00: D8EC04C0 3E000004
	s_waitcnt lgkmcnt(4)                                       // 00000000DB08: BF8CC47F
	ds_read_b64 v[64:65], v4 offset:2304                       // 00000000DB0C: D8EC0900 40000004
	ds_read_b64 v[68:69], v4 offset:2368                       // 00000000DB14: D8EC0940 44000004
	ds_read_b64 v[66:67], v4 offset:3456                       // 00000000DB1C: D8EC0D80 42000004
	ds_read_b64 v[70:71], v4 offset:3520                       // 00000000DB24: D8EC0DC0 46000004
	s_waitcnt lgkmcnt(0)                                       // 00000000DB2C: BF8CC07F
	v_mov_b32_e32 v18, v19                                     // 00000000DB30: 7E240313
	buffer_store_dwordx4 v[56:59], v18, s[88:91], 0 offen offset:768// 00000000DB34: E07C1300 80163812
	buffer_store_dwordx4 v[64:67], v18, s[88:91], 0 offen offset:896// 00000000DB3C: E07C1380 80164012
	v_add_u32_e32 v18, 0x2000, v18                             // 00000000DB44: 682424FF 00002000
	buffer_store_dwordx4 v[60:63], v18, s[88:91], 0 offen offset:768// 00000000DB4C: E07C1300 80163C12
	buffer_store_dwordx4 v[68:71], v18, s[88:91], 0 offen offset:896// 00000000DB54: E07C1380 80164412
	v_add_u32_e32 v18, 0x2000, v18                             // 00000000DB5C: 682424FF 00002000
	s_branch label_3272                                        // 00000000DB64: BF820458

000000000000db68 <label_2E1A>:
	s_mul_i32 s56, s87, s75                                    // 00000000DB68: 92384B57
	s_add_u32 s8, s56, s8                                      // 00000000DB6C: 80080838
	s_addc_u32 s9, 0, s9                                       // 00000000DB70: 82090980
	v_and_b32_e32 v20, 15, v0                                  // 00000000DB74: 2628008F
	v_lshlrev_b32_e32 v18, 4, v20                              // 00000000DB78: 24242884
	v_lshrrev_b32_e32 v20, 4, v0                               // 00000000DB7C: 20280084
	v_mul_i32_i24_e32 v20, 0x800, v20                          // 00000000DB80: 0C2828FF 00000800
	v_add_u32_e32 v18, v18, v20                                // 00000000DB88: 68242912
	s_mul_i32 s56, s7, 0x8000                                  // 00000000DB8C: 9238FF07 00008000
	v_add_u32_e64 v18, v18, s56                                // 00000000DB94: D1340012 00007112
	v_mov_b32_e32 v19, v18                                     // 00000000DB9C: 7E260312
	s_mul_i32 s57, 4, s65                                      // 00000000DBA0: 92394184
	s_mul_i32 s77, s87, s57                                    // 00000000DBA4: 924D3957
	s_mov_b32 s56, s77                                         // 00000000DBA8: BEB8004D
	s_add_u32 s12, s56, s12                                    // 00000000DBAC: 800C0C38
	s_addc_u32 s13, 0, s13                                     // 00000000DBB0: 820D0D80
	v_and_b32_e32 v26, 15, v0                                  // 00000000DBB4: 2634008F
	v_lshlrev_b32_e32 v26, 2, v26                              // 00000000DBB8: 24343482
	s_mul_i32 s56, s7, 64                                      // 00000000DBBC: 9238C007
	v_add_u32_e64 v26, v26, s56                                // 00000000DBC0: D134001A 0000711A
	s_waitcnt vmcnt(0) lgkmcnt(0)                              // 00000000DBC8: BF8C0070
	s_barrier                                                  // 00000000DBCC: BF8A0000
	v_lshlrev_b32_e32 v5, 2, v0                                // 00000000DBD0: 240A0082
	s_mul_i32 s56, s7, 0x840                                   // 00000000DBD4: 9238FF07 00000840
	v_add_u32_e32 v5, s56, v5                                  // 00000000DBDC: 680A0A38
	v_lshlrev_b32_e32 v5, 2, v5                                // 00000000DBE0: 240A0A82
	v_lshrrev_b32_e32 v20, 4, v0                               // 00000000DBE4: 20280084
	v_mul_i32_i24_e32 v4, 4, v20                               // 00000000DBE8: 0C082884
	v_and_b32_e32 v20, 3, v0                                   // 00000000DBEC: 26280083
	v_mul_i32_i24_e32 v20, 0x108, v20                          // 00000000DBF0: 0C2828FF 00000108
	v_add_u32_e32 v4, v20, v4                                  // 00000000DBF8: 68080914
	v_and_b32_e32 v20, 15, v0                                  // 00000000DBFC: 2628008F
	v_lshrrev_b32_e32 v20, 2, v20                              // 00000000DC00: 20282882
	v_mul_i32_i24_e32 v20, 64, v20                             // 00000000DC04: 0C2828C0
	v_add_u32_e32 v4, v20, v4                                  // 00000000DC08: 68080914
	s_mul_i32 s56, s7, 0x840                                   // 00000000DC0C: 9238FF07 00000840
	v_add_u32_e32 v4, s56, v4                                  // 00000000DC14: 68080838
	v_lshlrev_b32_e32 v4, 2, v4                                // 00000000DC18: 24080882
	s_mov_b32 s56, 0                                           // 00000000DC1C: BEB80080
	v_add_u32_e64 v19, v19, s56                                // 00000000DC20: D1340013 00007113
	v_mov_b32_e32 v20, v56                                     // 00000000DC28: 7E280338
	v_mov_b32_e32 v21, v60                                     // 00000000DC2C: 7E2A033C
	v_mov_b32_e32 v22, v64                                     // 00000000DC30: 7E2C0340
	v_mov_b32_e32 v23, v68                                     // 00000000DC34: 7E2E0344
	v_mul_f32_e32 v20, s43, v20                                // 00000000DC38: 0A28282B
	v_mul_f32_e32 v21, s43, v21                                // 00000000DC3C: 0A2A2A2B
	v_mul_f32_e32 v22, s43, v22                                // 00000000DC40: 0A2C2C2B
	v_mul_f32_e32 v23, s43, v23                                // 00000000DC44: 0A2E2E2B
	ds_write_b128 v5, v[20:23]                                 // 00000000DC48: D9BE0000 00001405
	v_mov_b32_e32 v20, v57                                     // 00000000DC50: 7E280339
	v_mov_b32_e32 v21, v61                                     // 00000000DC54: 7E2A033D
	v_mov_b32_e32 v22, v65                                     // 00000000DC58: 7E2C0341
	v_mov_b32_e32 v23, v69                                     // 00000000DC5C: 7E2E0345
	v_mul_f32_e32 v20, s43, v20                                // 00000000DC60: 0A28282B
	v_mul_f32_e32 v21, s43, v21                                // 00000000DC64: 0A2A2A2B
	v_mul_f32_e32 v22, s43, v22                                // 00000000DC68: 0A2C2C2B
	v_mul_f32_e32 v23, s43, v23                                // 00000000DC6C: 0A2E2E2B
	ds_write_b128 v5, v[20:23] offset:1056                     // 00000000DC70: D9BE0420 00001405
	v_mov_b32_e32 v20, v58                                     // 00000000DC78: 7E28033A
	v_mov_b32_e32 v21, v62                                     // 00000000DC7C: 7E2A033E
	v_mov_b32_e32 v22, v66                                     // 00000000DC80: 7E2C0342
	v_mov_b32_e32 v23, v70                                     // 00000000DC84: 7E2E0346
	v_mul_f32_e32 v20, s43, v20                                // 00000000DC88: 0A28282B
	v_mul_f32_e32 v21, s43, v21                                // 00000000DC8C: 0A2A2A2B
	v_mul_f32_e32 v22, s43, v22                                // 00000000DC90: 0A2C2C2B
	v_mul_f32_e32 v23, s43, v23                                // 00000000DC94: 0A2E2E2B
	ds_write_b128 v5, v[20:23] offset:2112                     // 00000000DC98: D9BE0840 00001405
	v_mov_b32_e32 v20, v59                                     // 00000000DCA0: 7E28033B
	v_mov_b32_e32 v21, v63                                     // 00000000DCA4: 7E2A033F
	v_mov_b32_e32 v22, v67                                     // 00000000DCA8: 7E2C0343
	v_mov_b32_e32 v23, v71                                     // 00000000DCAC: 7E2E0347
	v_mul_f32_e32 v20, s43, v20                                // 00000000DCB0: 0A28282B
	v_mul_f32_e32 v21, s43, v21                                // 00000000DCB4: 0A2A2A2B
	v_mul_f32_e32 v22, s43, v22                                // 00000000DCB8: 0A2C2C2B
	v_mul_f32_e32 v23, s43, v23                                // 00000000DCBC: 0A2E2E2B
	ds_write_b128 v5, v[20:23] offset:3168                     // 00000000DCC0: D9BE0C60 00001405
	v_mov_b32_e32 v20, v72                                     // 00000000DCC8: 7E280348
	v_mov_b32_e32 v21, v76                                     // 00000000DCCC: 7E2A034C
	v_mov_b32_e32 v22, v80                                     // 00000000DCD0: 7E2C0350
	v_mov_b32_e32 v23, v84                                     // 00000000DCD4: 7E2E0354
	v_mul_f32_e32 v20, s43, v20                                // 00000000DCD8: 0A28282B
	v_mul_f32_e32 v21, s43, v21                                // 00000000DCDC: 0A2A2A2B
	v_mul_f32_e32 v22, s43, v22                                // 00000000DCE0: 0A2C2C2B
	v_mul_f32_e32 v23, s43, v23                                // 00000000DCE4: 0A2E2E2B
	ds_write_b128 v5, v[20:23] offset:4224                     // 00000000DCE8: D9BE1080 00001405
	v_mov_b32_e32 v20, v73                                     // 00000000DCF0: 7E280349
	v_mov_b32_e32 v21, v77                                     // 00000000DCF4: 7E2A034D
	v_mov_b32_e32 v22, v81                                     // 00000000DCF8: 7E2C0351
	v_mov_b32_e32 v23, v85                                     // 00000000DCFC: 7E2E0355
	v_mul_f32_e32 v20, s43, v20                                // 00000000DD00: 0A28282B
	v_mul_f32_e32 v21, s43, v21                                // 00000000DD04: 0A2A2A2B
	v_mul_f32_e32 v22, s43, v22                                // 00000000DD08: 0A2C2C2B
	v_mul_f32_e32 v23, s43, v23                                // 00000000DD0C: 0A2E2E2B
	ds_write_b128 v5, v[20:23] offset:5280                     // 00000000DD10: D9BE14A0 00001405
	v_mov_b32_e32 v20, v74                                     // 00000000DD18: 7E28034A
	v_mov_b32_e32 v21, v78                                     // 00000000DD1C: 7E2A034E
	v_mov_b32_e32 v22, v82                                     // 00000000DD20: 7E2C0352
	v_mov_b32_e32 v23, v86                                     // 00000000DD24: 7E2E0356
	v_mul_f32_e32 v20, s43, v20                                // 00000000DD28: 0A28282B
	v_mul_f32_e32 v21, s43, v21                                // 00000000DD2C: 0A2A2A2B
	v_mul_f32_e32 v22, s43, v22                                // 00000000DD30: 0A2C2C2B
	v_mul_f32_e32 v23, s43, v23                                // 00000000DD34: 0A2E2E2B
	ds_write_b128 v5, v[20:23] offset:6336                     // 00000000DD38: D9BE18C0 00001405
	v_mov_b32_e32 v20, v75                                     // 00000000DD40: 7E28034B
	v_mov_b32_e32 v21, v79                                     // 00000000DD44: 7E2A034F
	v_mov_b32_e32 v22, v83                                     // 00000000DD48: 7E2C0353
	v_mov_b32_e32 v23, v87                                     // 00000000DD4C: 7E2E0357
	v_mul_f32_e32 v20, s43, v20                                // 00000000DD50: 0A28282B
	v_mul_f32_e32 v21, s43, v21                                // 00000000DD54: 0A2A2A2B
	v_mul_f32_e32 v22, s43, v22                                // 00000000DD58: 0A2C2C2B
	v_mul_f32_e32 v23, s43, v23                                // 00000000DD5C: 0A2E2E2B
	ds_write_b128 v5, v[20:23] offset:7392                     // 00000000DD60: D9BE1CE0 00001405
	s_waitcnt lgkmcnt(4)                                       // 00000000DD68: BF8CC47F
	ds_read_b128 v[56:59], v4                                  // 00000000DD6C: D9FE0000 38000004
	ds_read_b128 v[60:63], v4 offset:64                        // 00000000DD74: D9FE0040 3C000004
	ds_read_b128 v[64:67], v4 offset:128                       // 00000000DD7C: D9FE0080 40000004
	ds_read_b128 v[68:71], v4 offset:192                       // 00000000DD84: D9FE00C0 44000004
	s_waitcnt lgkmcnt(4)                                       // 00000000DD8C: BF8CC47F
	ds_read_b128 v[72:75], v4 offset:4224                      // 00000000DD90: D9FE1080 48000004
	ds_read_b128 v[76:79], v4 offset:4288                      // 00000000DD98: D9FE10C0 4C000004
	ds_read_b128 v[80:83], v4 offset:4352                      // 00000000DDA0: D9FE1100 50000004
	ds_read_b128 v[84:87], v4 offset:4416                      // 00000000DDA8: D9FE1140 54000004
	s_waitcnt lgkmcnt(0)                                       // 00000000DDB0: BF8CC07F
	v_mov_b32_e32 v18, v19                                     // 00000000DDB4: 7E240313
	buffer_store_dwordx4 v[56:59], v18, s[8:11], 0 offen       // 00000000DDB8: E07C1000 80023812
	buffer_store_dwordx4 v[72:75], v18, s[8:11], 0 offen offset:256// 00000000DDC0: E07C1100 80024812
	v_add_u32_e32 v18, 0x2000, v18                             // 00000000DDC8: 682424FF 00002000
	buffer_store_dwordx4 v[60:63], v18, s[8:11], 0 offen       // 00000000DDD0: E07C1000 80023C12
	buffer_store_dwordx4 v[76:79], v18, s[8:11], 0 offen offset:256// 00000000DDD8: E07C1100 80024C12
	v_add_u32_e32 v18, 0x2000, v18                             // 00000000DDE0: 682424FF 00002000
	buffer_store_dwordx4 v[64:67], v18, s[8:11], 0 offen       // 00000000DDE8: E07C1000 80024012
	buffer_store_dwordx4 v[80:83], v18, s[8:11], 0 offen offset:256// 00000000DDF0: E07C1100 80025012
	v_add_u32_e32 v18, 0x2000, v18                             // 00000000DDF8: 682424FF 00002000
	buffer_store_dwordx4 v[68:71], v18, s[8:11], 0 offen       // 00000000DE00: E07C1000 80024412
	buffer_store_dwordx4 v[84:87], v18, s[8:11], 0 offen offset:256// 00000000DE08: E07C1100 80025412
	v_add_u32_e32 v18, 0x2000, v18                             // 00000000DE10: 682424FF 00002000
	v_mov_b32_e32 v20, v88                                     // 00000000DE18: 7E280358
	v_mov_b32_e32 v21, v92                                     // 00000000DE1C: 7E2A035C
	v_mov_b32_e32 v22, v96                                     // 00000000DE20: 7E2C0360
	v_mov_b32_e32 v23, v100                                    // 00000000DE24: 7E2E0364
	v_mul_f32_e32 v20, s43, v20                                // 00000000DE28: 0A28282B
	v_mul_f32_e32 v21, s43, v21                                // 00000000DE2C: 0A2A2A2B
	v_mul_f32_e32 v22, s43, v22                                // 00000000DE30: 0A2C2C2B
	v_mul_f32_e32 v23, s43, v23                                // 00000000DE34: 0A2E2E2B
	ds_write_b128 v5, v[20:23]                                 // 00000000DE38: D9BE0000 00001405
	v_mov_b32_e32 v20, v89                                     // 00000000DE40: 7E280359
	v_mov_b32_e32 v21, v93                                     // 00000000DE44: 7E2A035D
	v_mov_b32_e32 v22, v97                                     // 00000000DE48: 7E2C0361
	v_mov_b32_e32 v23, v101                                    // 00000000DE4C: 7E2E0365
	v_mul_f32_e32 v20, s43, v20                                // 00000000DE50: 0A28282B
	v_mul_f32_e32 v21, s43, v21                                // 00000000DE54: 0A2A2A2B
	v_mul_f32_e32 v22, s43, v22                                // 00000000DE58: 0A2C2C2B
	v_mul_f32_e32 v23, s43, v23                                // 00000000DE5C: 0A2E2E2B
	ds_write_b128 v5, v[20:23] offset:1056                     // 00000000DE60: D9BE0420 00001405
	v_mov_b32_e32 v20, v90                                     // 00000000DE68: 7E28035A
	v_mov_b32_e32 v21, v94                                     // 00000000DE6C: 7E2A035E
	v_mov_b32_e32 v22, v98                                     // 00000000DE70: 7E2C0362
	v_mov_b32_e32 v23, v102                                    // 00000000DE74: 7E2E0366
	v_mul_f32_e32 v20, s43, v20                                // 00000000DE78: 0A28282B
	v_mul_f32_e32 v21, s43, v21                                // 00000000DE7C: 0A2A2A2B
	v_mul_f32_e32 v22, s43, v22                                // 00000000DE80: 0A2C2C2B
	v_mul_f32_e32 v23, s43, v23                                // 00000000DE84: 0A2E2E2B
	ds_write_b128 v5, v[20:23] offset:2112                     // 00000000DE88: D9BE0840 00001405
	v_mov_b32_e32 v20, v91                                     // 00000000DE90: 7E28035B
	v_mov_b32_e32 v21, v95                                     // 00000000DE94: 7E2A035F
	v_mov_b32_e32 v22, v99                                     // 00000000DE98: 7E2C0363
	v_mov_b32_e32 v23, v103                                    // 00000000DE9C: 7E2E0367
	v_mul_f32_e32 v20, s43, v20                                // 00000000DEA0: 0A28282B
	v_mul_f32_e32 v21, s43, v21                                // 00000000DEA4: 0A2A2A2B
	v_mul_f32_e32 v22, s43, v22                                // 00000000DEA8: 0A2C2C2B
	v_mul_f32_e32 v23, s43, v23                                // 00000000DEAC: 0A2E2E2B
	ds_write_b128 v5, v[20:23] offset:3168                     // 00000000DEB0: D9BE0C60 00001405
	v_mov_b32_e32 v20, v104                                    // 00000000DEB8: 7E280368
	v_mov_b32_e32 v21, v108                                    // 00000000DEBC: 7E2A036C
	v_mov_b32_e32 v22, v112                                    // 00000000DEC0: 7E2C0370
	v_mov_b32_e32 v23, v116                                    // 00000000DEC4: 7E2E0374
	v_mul_f32_e32 v20, s43, v20                                // 00000000DEC8: 0A28282B
	v_mul_f32_e32 v21, s43, v21                                // 00000000DECC: 0A2A2A2B
	v_mul_f32_e32 v22, s43, v22                                // 00000000DED0: 0A2C2C2B
	v_mul_f32_e32 v23, s43, v23                                // 00000000DED4: 0A2E2E2B
	ds_write_b128 v5, v[20:23] offset:4224                     // 00000000DED8: D9BE1080 00001405
	v_mov_b32_e32 v20, v105                                    // 00000000DEE0: 7E280369
	v_mov_b32_e32 v21, v109                                    // 00000000DEE4: 7E2A036D
	v_mov_b32_e32 v22, v113                                    // 00000000DEE8: 7E2C0371
	v_mov_b32_e32 v23, v117                                    // 00000000DEEC: 7E2E0375
	v_mul_f32_e32 v20, s43, v20                                // 00000000DEF0: 0A28282B
	v_mul_f32_e32 v21, s43, v21                                // 00000000DEF4: 0A2A2A2B
	v_mul_f32_e32 v22, s43, v22                                // 00000000DEF8: 0A2C2C2B
	v_mul_f32_e32 v23, s43, v23                                // 00000000DEFC: 0A2E2E2B
	ds_write_b128 v5, v[20:23] offset:5280                     // 00000000DF00: D9BE14A0 00001405
	v_mov_b32_e32 v20, v106                                    // 00000000DF08: 7E28036A
	v_mov_b32_e32 v21, v110                                    // 00000000DF0C: 7E2A036E
	v_mov_b32_e32 v22, v114                                    // 00000000DF10: 7E2C0372
	v_mov_b32_e32 v23, v118                                    // 00000000DF14: 7E2E0376
	v_mul_f32_e32 v20, s43, v20                                // 00000000DF18: 0A28282B
	v_mul_f32_e32 v21, s43, v21                                // 00000000DF1C: 0A2A2A2B
	v_mul_f32_e32 v22, s43, v22                                // 00000000DF20: 0A2C2C2B
	v_mul_f32_e32 v23, s43, v23                                // 00000000DF24: 0A2E2E2B
	ds_write_b128 v5, v[20:23] offset:6336                     // 00000000DF28: D9BE18C0 00001405
	v_mov_b32_e32 v20, v107                                    // 00000000DF30: 7E28036B
	v_mov_b32_e32 v21, v111                                    // 00000000DF34: 7E2A036F
	v_mov_b32_e32 v22, v115                                    // 00000000DF38: 7E2C0373
	v_mov_b32_e32 v23, v119                                    // 00000000DF3C: 7E2E0377
	v_mul_f32_e32 v20, s43, v20                                // 00000000DF40: 0A28282B
	v_mul_f32_e32 v21, s43, v21                                // 00000000DF44: 0A2A2A2B
	v_mul_f32_e32 v22, s43, v22                                // 00000000DF48: 0A2C2C2B
	v_mul_f32_e32 v23, s43, v23                                // 00000000DF4C: 0A2E2E2B
	ds_write_b128 v5, v[20:23] offset:7392                     // 00000000DF50: D9BE1CE0 00001405
	s_waitcnt lgkmcnt(4)                                       // 00000000DF58: BF8CC47F
	ds_read_b128 v[56:59], v4                                  // 00000000DF5C: D9FE0000 38000004
	ds_read_b128 v[60:63], v4 offset:64                        // 00000000DF64: D9FE0040 3C000004
	ds_read_b128 v[64:67], v4 offset:128                       // 00000000DF6C: D9FE0080 40000004
	ds_read_b128 v[68:71], v4 offset:192                       // 00000000DF74: D9FE00C0 44000004
	s_waitcnt lgkmcnt(4)                                       // 00000000DF7C: BF8CC47F
	ds_read_b128 v[72:75], v4 offset:4224                      // 00000000DF80: D9FE1080 48000004
	ds_read_b128 v[76:79], v4 offset:4288                      // 00000000DF88: D9FE10C0 4C000004
	ds_read_b128 v[80:83], v4 offset:4352                      // 00000000DF90: D9FE1100 50000004
	ds_read_b128 v[84:87], v4 offset:4416                      // 00000000DF98: D9FE1140 54000004
	s_waitcnt lgkmcnt(0)                                       // 00000000DFA0: BF8CC07F
	v_mov_b32_e32 v18, v19                                     // 00000000DFA4: 7E240313
	buffer_store_dwordx4 v[56:59], v18, s[8:11], 0 offen offset:512// 00000000DFA8: E07C1200 80023812
	buffer_store_dwordx4 v[72:75], v18, s[8:11], 0 offen offset:768// 00000000DFB0: E07C1300 80024812
	v_add_u32_e32 v18, 0x2000, v18                             // 00000000DFB8: 682424FF 00002000
	buffer_store_dwordx4 v[60:63], v18, s[8:11], 0 offen offset:512// 00000000DFC0: E07C1200 80023C12
	buffer_store_dwordx4 v[76:79], v18, s[8:11], 0 offen offset:768// 00000000DFC8: E07C1300 80024C12
	v_add_u32_e32 v18, 0x2000, v18                             // 00000000DFD0: 682424FF 00002000
	buffer_store_dwordx4 v[64:67], v18, s[8:11], 0 offen offset:512// 00000000DFD8: E07C1200 80024012
	buffer_store_dwordx4 v[80:83], v18, s[8:11], 0 offen offset:768// 00000000DFE0: E07C1300 80025012
	v_add_u32_e32 v18, 0x2000, v18                             // 00000000DFE8: 682424FF 00002000
	buffer_store_dwordx4 v[68:71], v18, s[8:11], 0 offen offset:512// 00000000DFF0: E07C1200 80024412
	buffer_store_dwordx4 v[84:87], v18, s[8:11], 0 offen offset:768// 00000000DFF8: E07C1300 80025412
	v_add_u32_e32 v18, 0x2000, v18                             // 00000000E000: 682424FF 00002000
	v_mov_b32_e32 v20, v120                                    // 00000000E008: 7E280378
	v_mov_b32_e32 v21, v124                                    // 00000000E00C: 7E2A037C
	v_mov_b32_e32 v22, v128                                    // 00000000E010: 7E2C0380
	v_mov_b32_e32 v23, v132                                    // 00000000E014: 7E2E0384
	v_mul_f32_e32 v20, s43, v20                                // 00000000E018: 0A28282B
	v_mul_f32_e32 v21, s43, v21                                // 00000000E01C: 0A2A2A2B
	v_mul_f32_e32 v22, s43, v22                                // 00000000E020: 0A2C2C2B
	v_mul_f32_e32 v23, s43, v23                                // 00000000E024: 0A2E2E2B
	ds_write_b128 v5, v[20:23]                                 // 00000000E028: D9BE0000 00001405
	v_mov_b32_e32 v20, v121                                    // 00000000E030: 7E280379
	v_mov_b32_e32 v21, v125                                    // 00000000E034: 7E2A037D
	v_mov_b32_e32 v22, v129                                    // 00000000E038: 7E2C0381
	v_mov_b32_e32 v23, v133                                    // 00000000E03C: 7E2E0385
	v_mul_f32_e32 v20, s43, v20                                // 00000000E040: 0A28282B
	v_mul_f32_e32 v21, s43, v21                                // 00000000E044: 0A2A2A2B
	v_mul_f32_e32 v22, s43, v22                                // 00000000E048: 0A2C2C2B
	v_mul_f32_e32 v23, s43, v23                                // 00000000E04C: 0A2E2E2B
	ds_write_b128 v5, v[20:23] offset:1056                     // 00000000E050: D9BE0420 00001405
	v_mov_b32_e32 v20, v122                                    // 00000000E058: 7E28037A
	v_mov_b32_e32 v21, v126                                    // 00000000E05C: 7E2A037E
	v_mov_b32_e32 v22, v130                                    // 00000000E060: 7E2C0382
	v_mov_b32_e32 v23, v134                                    // 00000000E064: 7E2E0386
	v_mul_f32_e32 v20, s43, v20                                // 00000000E068: 0A28282B
	v_mul_f32_e32 v21, s43, v21                                // 00000000E06C: 0A2A2A2B
	v_mul_f32_e32 v22, s43, v22                                // 00000000E070: 0A2C2C2B
	v_mul_f32_e32 v23, s43, v23                                // 00000000E074: 0A2E2E2B
	ds_write_b128 v5, v[20:23] offset:2112                     // 00000000E078: D9BE0840 00001405
	v_mov_b32_e32 v20, v123                                    // 00000000E080: 7E28037B
	v_mov_b32_e32 v21, v127                                    // 00000000E084: 7E2A037F
	v_mov_b32_e32 v22, v131                                    // 00000000E088: 7E2C0383
	v_mov_b32_e32 v23, v135                                    // 00000000E08C: 7E2E0387
	v_mul_f32_e32 v20, s43, v20                                // 00000000E090: 0A28282B
	v_mul_f32_e32 v21, s43, v21                                // 00000000E094: 0A2A2A2B
	v_mul_f32_e32 v22, s43, v22                                // 00000000E098: 0A2C2C2B
	v_mul_f32_e32 v23, s43, v23                                // 00000000E09C: 0A2E2E2B
	ds_write_b128 v5, v[20:23] offset:3168                     // 00000000E0A0: D9BE0C60 00001405
	v_mov_b32_e32 v20, v136                                    // 00000000E0A8: 7E280388
	v_mov_b32_e32 v21, v140                                    // 00000000E0AC: 7E2A038C
	v_mov_b32_e32 v22, v144                                    // 00000000E0B0: 7E2C0390
	v_mov_b32_e32 v23, v148                                    // 00000000E0B4: 7E2E0394
	v_mul_f32_e32 v20, s43, v20                                // 00000000E0B8: 0A28282B
	v_mul_f32_e32 v21, s43, v21                                // 00000000E0BC: 0A2A2A2B
	v_mul_f32_e32 v22, s43, v22                                // 00000000E0C0: 0A2C2C2B
	v_mul_f32_e32 v23, s43, v23                                // 00000000E0C4: 0A2E2E2B
	ds_write_b128 v5, v[20:23] offset:4224                     // 00000000E0C8: D9BE1080 00001405
	v_mov_b32_e32 v20, v137                                    // 00000000E0D0: 7E280389
	v_mov_b32_e32 v21, v141                                    // 00000000E0D4: 7E2A038D
	v_mov_b32_e32 v22, v145                                    // 00000000E0D8: 7E2C0391
	v_mov_b32_e32 v23, v149                                    // 00000000E0DC: 7E2E0395
	v_mul_f32_e32 v20, s43, v20                                // 00000000E0E0: 0A28282B
	v_mul_f32_e32 v21, s43, v21                                // 00000000E0E4: 0A2A2A2B
	v_mul_f32_e32 v22, s43, v22                                // 00000000E0E8: 0A2C2C2B
	v_mul_f32_e32 v23, s43, v23                                // 00000000E0EC: 0A2E2E2B
	ds_write_b128 v5, v[20:23] offset:5280                     // 00000000E0F0: D9BE14A0 00001405
	v_mov_b32_e32 v20, v138                                    // 00000000E0F8: 7E28038A
	v_mov_b32_e32 v21, v142                                    // 00000000E0FC: 7E2A038E
	v_mov_b32_e32 v22, v146                                    // 00000000E100: 7E2C0392
	v_mov_b32_e32 v23, v150                                    // 00000000E104: 7E2E0396
	v_mul_f32_e32 v20, s43, v20                                // 00000000E108: 0A28282B
	v_mul_f32_e32 v21, s43, v21                                // 00000000E10C: 0A2A2A2B
	v_mul_f32_e32 v22, s43, v22                                // 00000000E110: 0A2C2C2B
	v_mul_f32_e32 v23, s43, v23                                // 00000000E114: 0A2E2E2B
	ds_write_b128 v5, v[20:23] offset:6336                     // 00000000E118: D9BE18C0 00001405
	v_mov_b32_e32 v20, v139                                    // 00000000E120: 7E28038B
	v_mov_b32_e32 v21, v143                                    // 00000000E124: 7E2A038F
	v_mov_b32_e32 v22, v147                                    // 00000000E128: 7E2C0393
	v_mov_b32_e32 v23, v151                                    // 00000000E12C: 7E2E0397
	v_mul_f32_e32 v20, s43, v20                                // 00000000E130: 0A28282B
	v_mul_f32_e32 v21, s43, v21                                // 00000000E134: 0A2A2A2B
	v_mul_f32_e32 v22, s43, v22                                // 00000000E138: 0A2C2C2B
	v_mul_f32_e32 v23, s43, v23                                // 00000000E13C: 0A2E2E2B
	ds_write_b128 v5, v[20:23] offset:7392                     // 00000000E140: D9BE1CE0 00001405
	s_waitcnt lgkmcnt(4)                                       // 00000000E148: BF8CC47F
	ds_read_b128 v[56:59], v4                                  // 00000000E14C: D9FE0000 38000004
	ds_read_b128 v[60:63], v4 offset:64                        // 00000000E154: D9FE0040 3C000004
	ds_read_b128 v[64:67], v4 offset:128                       // 00000000E15C: D9FE0080 40000004
	ds_read_b128 v[68:71], v4 offset:192                       // 00000000E164: D9FE00C0 44000004
	s_waitcnt lgkmcnt(4)                                       // 00000000E16C: BF8CC47F
	ds_read_b128 v[72:75], v4 offset:4224                      // 00000000E170: D9FE1080 48000004
	ds_read_b128 v[76:79], v4 offset:4288                      // 00000000E178: D9FE10C0 4C000004
	ds_read_b128 v[80:83], v4 offset:4352                      // 00000000E180: D9FE1100 50000004
	ds_read_b128 v[84:87], v4 offset:4416                      // 00000000E188: D9FE1140 54000004
	s_waitcnt lgkmcnt(0)                                       // 00000000E190: BF8CC07F
	v_mov_b32_e32 v18, v19                                     // 00000000E194: 7E240313
	buffer_store_dwordx4 v[56:59], v18, s[8:11], 0 offen offset:1024// 00000000E198: E07C1400 80023812
	buffer_store_dwordx4 v[72:75], v18, s[8:11], 0 offen offset:1280// 00000000E1A0: E07C1500 80024812
	v_add_u32_e32 v18, 0x2000, v18                             // 00000000E1A8: 682424FF 00002000
	buffer_store_dwordx4 v[60:63], v18, s[8:11], 0 offen offset:1024// 00000000E1B0: E07C1400 80023C12
	buffer_store_dwordx4 v[76:79], v18, s[8:11], 0 offen offset:1280// 00000000E1B8: E07C1500 80024C12
	v_add_u32_e32 v18, 0x2000, v18                             // 00000000E1C0: 682424FF 00002000
	buffer_store_dwordx4 v[64:67], v18, s[8:11], 0 offen offset:1024// 00000000E1C8: E07C1400 80024012
	buffer_store_dwordx4 v[80:83], v18, s[8:11], 0 offen offset:1280// 00000000E1D0: E07C1500 80025012
	v_add_u32_e32 v18, 0x2000, v18                             // 00000000E1D8: 682424FF 00002000
	buffer_store_dwordx4 v[68:71], v18, s[8:11], 0 offen offset:1024// 00000000E1E0: E07C1400 80024412
	buffer_store_dwordx4 v[84:87], v18, s[8:11], 0 offen offset:1280// 00000000E1E8: E07C1500 80025412
	v_add_u32_e32 v18, 0x2000, v18                             // 00000000E1F0: 682424FF 00002000
	v_mov_b32_e32 v20, v152                                    // 00000000E1F8: 7E280398
	v_accvgpr_read_b32 v21, a144                               // 00000000E1FC: D3D84015 18000190
	v_accvgpr_read_b32 v22, a148                               // 00000000E204: D3D84016 18000194
	v_accvgpr_read_b32 v23, a152                               // 00000000E20C: D3D84017 18000198
	v_mul_f32_e32 v20, s43, v20                                // 00000000E214: 0A28282B
	v_mul_f32_e32 v21, s43, v21                                // 00000000E218: 0A2A2A2B
	v_mul_f32_e32 v22, s43, v22                                // 00000000E21C: 0A2C2C2B
	v_mul_f32_e32 v23, s43, v23                                // 00000000E220: 0A2E2E2B
	ds_write_b128 v5, v[20:23]                                 // 00000000E224: D9BE0000 00001405
	v_mov_b32_e32 v20, v153                                    // 00000000E22C: 7E280399
	v_accvgpr_read_b32 v21, a145                               // 00000000E230: D3D84015 18000191
	v_accvgpr_read_b32 v22, a149                               // 00000000E238: D3D84016 18000195
	v_accvgpr_read_b32 v23, a153                               // 00000000E240: D3D84017 18000199
	v_mul_f32_e32 v20, s43, v20                                // 00000000E248: 0A28282B
	v_mul_f32_e32 v21, s43, v21                                // 00000000E24C: 0A2A2A2B
	v_mul_f32_e32 v22, s43, v22                                // 00000000E250: 0A2C2C2B
	v_mul_f32_e32 v23, s43, v23                                // 00000000E254: 0A2E2E2B
	ds_write_b128 v5, v[20:23] offset:1056                     // 00000000E258: D9BE0420 00001405
	v_mov_b32_e32 v20, v154                                    // 00000000E260: 7E28039A
	v_accvgpr_read_b32 v21, a146                               // 00000000E264: D3D84015 18000192
	v_accvgpr_read_b32 v22, a150                               // 00000000E26C: D3D84016 18000196
	v_accvgpr_read_b32 v23, a154                               // 00000000E274: D3D84017 1800019A
	v_mul_f32_e32 v20, s43, v20                                // 00000000E27C: 0A28282B
	v_mul_f32_e32 v21, s43, v21                                // 00000000E280: 0A2A2A2B
	v_mul_f32_e32 v22, s43, v22                                // 00000000E284: 0A2C2C2B
	v_mul_f32_e32 v23, s43, v23                                // 00000000E288: 0A2E2E2B
	ds_write_b128 v5, v[20:23] offset:2112                     // 00000000E28C: D9BE0840 00001405
	v_mov_b32_e32 v20, v155                                    // 00000000E294: 7E28039B
	v_accvgpr_read_b32 v21, a147                               // 00000000E298: D3D84015 18000193
	v_accvgpr_read_b32 v22, a151                               // 00000000E2A0: D3D84016 18000197
	v_accvgpr_read_b32 v23, a155                               // 00000000E2A8: D3D84017 1800019B
	v_mul_f32_e32 v20, s43, v20                                // 00000000E2B0: 0A28282B
	v_mul_f32_e32 v21, s43, v21                                // 00000000E2B4: 0A2A2A2B
	v_mul_f32_e32 v22, s43, v22                                // 00000000E2B8: 0A2C2C2B
	v_mul_f32_e32 v23, s43, v23                                // 00000000E2BC: 0A2E2E2B
	ds_write_b128 v5, v[20:23] offset:3168                     // 00000000E2C0: D9BE0C60 00001405
	v_accvgpr_read_b32 v20, a156                               // 00000000E2C8: D3D84014 1800019C
	v_accvgpr_read_b32 v21, a160                               // 00000000E2D0: D3D84015 180001A0
	v_accvgpr_read_b32 v22, a164                               // 00000000E2D8: D3D84016 180001A4
	v_accvgpr_read_b32 v23, a168                               // 00000000E2E0: D3D84017 180001A8
	v_mul_f32_e32 v20, s43, v20                                // 00000000E2E8: 0A28282B
	v_mul_f32_e32 v21, s43, v21                                // 00000000E2EC: 0A2A2A2B
	v_mul_f32_e32 v22, s43, v22                                // 00000000E2F0: 0A2C2C2B
	v_mul_f32_e32 v23, s43, v23                                // 00000000E2F4: 0A2E2E2B
	ds_write_b128 v5, v[20:23] offset:4224                     // 00000000E2F8: D9BE1080 00001405
	v_accvgpr_read_b32 v20, a157                               // 00000000E300: D3D84014 1800019D
	v_accvgpr_read_b32 v21, a161                               // 00000000E308: D3D84015 180001A1
	v_accvgpr_read_b32 v22, a165                               // 00000000E310: D3D84016 180001A5
	v_accvgpr_read_b32 v23, a169                               // 00000000E318: D3D84017 180001A9
	v_mul_f32_e32 v20, s43, v20                                // 00000000E320: 0A28282B
	v_mul_f32_e32 v21, s43, v21                                // 00000000E324: 0A2A2A2B
	v_mul_f32_e32 v22, s43, v22                                // 00000000E328: 0A2C2C2B
	v_mul_f32_e32 v23, s43, v23                                // 00000000E32C: 0A2E2E2B
	ds_write_b128 v5, v[20:23] offset:5280                     // 00000000E330: D9BE14A0 00001405
	v_accvgpr_read_b32 v20, a158                               // 00000000E338: D3D84014 1800019E
	v_accvgpr_read_b32 v21, a162                               // 00000000E340: D3D84015 180001A2
	v_accvgpr_read_b32 v22, a166                               // 00000000E348: D3D84016 180001A6
	v_accvgpr_read_b32 v23, a170                               // 00000000E350: D3D84017 180001AA
	v_mul_f32_e32 v20, s43, v20                                // 00000000E358: 0A28282B
	v_mul_f32_e32 v21, s43, v21                                // 00000000E35C: 0A2A2A2B
	v_mul_f32_e32 v22, s43, v22                                // 00000000E360: 0A2C2C2B
	v_mul_f32_e32 v23, s43, v23                                // 00000000E364: 0A2E2E2B
	ds_write_b128 v5, v[20:23] offset:6336                     // 00000000E368: D9BE18C0 00001405
	v_accvgpr_read_b32 v20, a159                               // 00000000E370: D3D84014 1800019F
	v_accvgpr_read_b32 v21, a163                               // 00000000E378: D3D84015 180001A3
	v_accvgpr_read_b32 v22, a167                               // 00000000E380: D3D84016 180001A7
	v_accvgpr_read_b32 v23, a171                               // 00000000E388: D3D84017 180001AB
	v_mul_f32_e32 v20, s43, v20                                // 00000000E390: 0A28282B
	v_mul_f32_e32 v21, s43, v21                                // 00000000E394: 0A2A2A2B
	v_mul_f32_e32 v22, s43, v22                                // 00000000E398: 0A2C2C2B
	v_mul_f32_e32 v23, s43, v23                                // 00000000E39C: 0A2E2E2B
	ds_write_b128 v5, v[20:23] offset:7392                     // 00000000E3A0: D9BE1CE0 00001405
	s_waitcnt lgkmcnt(4)                                       // 00000000E3A8: BF8CC47F
	ds_read_b128 v[56:59], v4                                  // 00000000E3AC: D9FE0000 38000004
	ds_read_b128 v[60:63], v4 offset:64                        // 00000000E3B4: D9FE0040 3C000004
	ds_read_b128 v[64:67], v4 offset:128                       // 00000000E3BC: D9FE0080 40000004
	ds_read_b128 v[68:71], v4 offset:192                       // 00000000E3C4: D9FE00C0 44000004
	s_waitcnt lgkmcnt(4)                                       // 00000000E3CC: BF8CC47F
	ds_read_b128 v[72:75], v4 offset:4224                      // 00000000E3D0: D9FE1080 48000004
	ds_read_b128 v[76:79], v4 offset:4288                      // 00000000E3D8: D9FE10C0 4C000004
	ds_read_b128 v[80:83], v4 offset:4352                      // 00000000E3E0: D9FE1100 50000004
	ds_read_b128 v[84:87], v4 offset:4416                      // 00000000E3E8: D9FE1140 54000004
	s_waitcnt lgkmcnt(0)                                       // 00000000E3F0: BF8CC07F
	v_mov_b32_e32 v18, v19                                     // 00000000E3F4: 7E240313
	buffer_store_dwordx4 v[56:59], v18, s[8:11], 0 offen offset:1536// 00000000E3F8: E07C1600 80023812
	buffer_store_dwordx4 v[72:75], v18, s[8:11], 0 offen offset:1792// 00000000E400: E07C1700 80024812
	v_add_u32_e32 v18, 0x2000, v18                             // 00000000E408: 682424FF 00002000
	buffer_store_dwordx4 v[60:63], v18, s[8:11], 0 offen offset:1536// 00000000E410: E07C1600 80023C12
	buffer_store_dwordx4 v[76:79], v18, s[8:11], 0 offen offset:1792// 00000000E418: E07C1700 80024C12
	v_add_u32_e32 v18, 0x2000, v18                             // 00000000E420: 682424FF 00002000
	buffer_store_dwordx4 v[64:67], v18, s[8:11], 0 offen offset:1536// 00000000E428: E07C1600 80024012
	buffer_store_dwordx4 v[80:83], v18, s[8:11], 0 offen offset:1792// 00000000E430: E07C1700 80025012
	v_add_u32_e32 v18, 0x2000, v18                             // 00000000E438: 682424FF 00002000
	buffer_store_dwordx4 v[68:71], v18, s[8:11], 0 offen offset:1536// 00000000E440: E07C1600 80024412
	buffer_store_dwordx4 v[84:87], v18, s[8:11], 0 offen offset:1792// 00000000E448: E07C1700 80025412
	v_add_u32_e32 v18, 0x2000, v18                             // 00000000E450: 682424FF 00002000
	buffer_store_dword v24, v26, s[12:15], 0 offen             // 00000000E458: E0701000 8003181A
	s_mov_b32 s56, 0x100                                       // 00000000E460: BEB800FF 00000100
	v_add_u32_e64 v26, v26, s56                                // 00000000E468: D134001A 0000711A
	s_mov_b32 s56, 0x20000                                     // 00000000E470: BEB800FF 00020000
	v_add_u32_e64 v19, v19, s56                                // 00000000E478: D1340013 00007113
	v_mov_b32_e32 v20, v156                                    // 00000000E480: 7E28039C
	v_mov_b32_e32 v21, v160                                    // 00000000E484: 7E2A03A0
	v_mov_b32_e32 v22, v164                                    // 00000000E488: 7E2C03A4
	v_mov_b32_e32 v23, v168                                    // 00000000E48C: 7E2E03A8
	v_mul_f32_e32 v20, s43, v20                                // 00000000E490: 0A28282B
	v_mul_f32_e32 v21, s43, v21                                // 00000000E494: 0A2A2A2B
	v_mul_f32_e32 v22, s43, v22                                // 00000000E498: 0A2C2C2B
	v_mul_f32_e32 v23, s43, v23                                // 00000000E49C: 0A2E2E2B
	ds_write_b128 v5, v[20:23]                                 // 00000000E4A0: D9BE0000 00001405
	v_mov_b32_e32 v20, v157                                    // 00000000E4A8: 7E28039D
	v_mov_b32_e32 v21, v161                                    // 00000000E4AC: 7E2A03A1
	v_mov_b32_e32 v22, v165                                    // 00000000E4B0: 7E2C03A5
	v_mov_b32_e32 v23, v169                                    // 00000000E4B4: 7E2E03A9
	v_mul_f32_e32 v20, s43, v20                                // 00000000E4B8: 0A28282B
	v_mul_f32_e32 v21, s43, v21                                // 00000000E4BC: 0A2A2A2B
	v_mul_f32_e32 v22, s43, v22                                // 00000000E4C0: 0A2C2C2B
	v_mul_f32_e32 v23, s43, v23                                // 00000000E4C4: 0A2E2E2B
	ds_write_b128 v5, v[20:23] offset:1056                     // 00000000E4C8: D9BE0420 00001405
	v_mov_b32_e32 v20, v158                                    // 00000000E4D0: 7E28039E
	v_mov_b32_e32 v21, v162                                    // 00000000E4D4: 7E2A03A2
	v_mov_b32_e32 v22, v166                                    // 00000000E4D8: 7E2C03A6
	v_mov_b32_e32 v23, v170                                    // 00000000E4DC: 7E2E03AA
	v_mul_f32_e32 v20, s43, v20                                // 00000000E4E0: 0A28282B
	v_mul_f32_e32 v21, s43, v21                                // 00000000E4E4: 0A2A2A2B
	v_mul_f32_e32 v22, s43, v22                                // 00000000E4E8: 0A2C2C2B
	v_mul_f32_e32 v23, s43, v23                                // 00000000E4EC: 0A2E2E2B
	ds_write_b128 v5, v[20:23] offset:2112                     // 00000000E4F0: D9BE0840 00001405
	v_mov_b32_e32 v20, v159                                    // 00000000E4F8: 7E28039F
	v_mov_b32_e32 v21, v163                                    // 00000000E4FC: 7E2A03A3
	v_mov_b32_e32 v22, v167                                    // 00000000E500: 7E2C03A7
	v_mov_b32_e32 v23, v171                                    // 00000000E504: 7E2E03AB
	v_mul_f32_e32 v20, s43, v20                                // 00000000E508: 0A28282B
	v_mul_f32_e32 v21, s43, v21                                // 00000000E50C: 0A2A2A2B
	v_mul_f32_e32 v22, s43, v22                                // 00000000E510: 0A2C2C2B
	v_mul_f32_e32 v23, s43, v23                                // 00000000E514: 0A2E2E2B
	ds_write_b128 v5, v[20:23] offset:3168                     // 00000000E518: D9BE0C60 00001405
	v_mov_b32_e32 v20, v172                                    // 00000000E520: 7E2803AC
	v_mov_b32_e32 v21, v176                                    // 00000000E524: 7E2A03B0
	v_mov_b32_e32 v22, v180                                    // 00000000E528: 7E2C03B4
	v_mov_b32_e32 v23, v184                                    // 00000000E52C: 7E2E03B8
	v_mul_f32_e32 v20, s43, v20                                // 00000000E530: 0A28282B
	v_mul_f32_e32 v21, s43, v21                                // 00000000E534: 0A2A2A2B
	v_mul_f32_e32 v22, s43, v22                                // 00000000E538: 0A2C2C2B
	v_mul_f32_e32 v23, s43, v23                                // 00000000E53C: 0A2E2E2B
	ds_write_b128 v5, v[20:23] offset:4224                     // 00000000E540: D9BE1080 00001405
	v_mov_b32_e32 v20, v173                                    // 00000000E548: 7E2803AD
	v_mov_b32_e32 v21, v177                                    // 00000000E54C: 7E2A03B1
	v_mov_b32_e32 v22, v181                                    // 00000000E550: 7E2C03B5
	v_mov_b32_e32 v23, v185                                    // 00000000E554: 7E2E03B9
	v_mul_f32_e32 v20, s43, v20                                // 00000000E558: 0A28282B
	v_mul_f32_e32 v21, s43, v21                                // 00000000E55C: 0A2A2A2B
	v_mul_f32_e32 v22, s43, v22                                // 00000000E560: 0A2C2C2B
	v_mul_f32_e32 v23, s43, v23                                // 00000000E564: 0A2E2E2B
	ds_write_b128 v5, v[20:23] offset:5280                     // 00000000E568: D9BE14A0 00001405
	v_mov_b32_e32 v20, v174                                    // 00000000E570: 7E2803AE
	v_mov_b32_e32 v21, v178                                    // 00000000E574: 7E2A03B2
	v_mov_b32_e32 v22, v182                                    // 00000000E578: 7E2C03B6
	v_mov_b32_e32 v23, v186                                    // 00000000E57C: 7E2E03BA
	v_mul_f32_e32 v20, s43, v20                                // 00000000E580: 0A28282B
	v_mul_f32_e32 v21, s43, v21                                // 00000000E584: 0A2A2A2B
	v_mul_f32_e32 v22, s43, v22                                // 00000000E588: 0A2C2C2B
	v_mul_f32_e32 v23, s43, v23                                // 00000000E58C: 0A2E2E2B
	ds_write_b128 v5, v[20:23] offset:6336                     // 00000000E590: D9BE18C0 00001405
	v_mov_b32_e32 v20, v175                                    // 00000000E598: 7E2803AF
	v_mov_b32_e32 v21, v179                                    // 00000000E59C: 7E2A03B3
	v_mov_b32_e32 v22, v183                                    // 00000000E5A0: 7E2C03B7
	v_mov_b32_e32 v23, v187                                    // 00000000E5A4: 7E2E03BB
	v_mul_f32_e32 v20, s43, v20                                // 00000000E5A8: 0A28282B
	v_mul_f32_e32 v21, s43, v21                                // 00000000E5AC: 0A2A2A2B
	v_mul_f32_e32 v22, s43, v22                                // 00000000E5B0: 0A2C2C2B
	v_mul_f32_e32 v23, s43, v23                                // 00000000E5B4: 0A2E2E2B
	ds_write_b128 v5, v[20:23] offset:7392                     // 00000000E5B8: D9BE1CE0 00001405
	s_waitcnt lgkmcnt(4)                                       // 00000000E5C0: BF8CC47F
	ds_read_b128 v[56:59], v4                                  // 00000000E5C4: D9FE0000 38000004
	ds_read_b128 v[60:63], v4 offset:64                        // 00000000E5CC: D9FE0040 3C000004
	ds_read_b128 v[64:67], v4 offset:128                       // 00000000E5D4: D9FE0080 40000004
	ds_read_b128 v[68:71], v4 offset:192                       // 00000000E5DC: D9FE00C0 44000004
	s_waitcnt lgkmcnt(4)                                       // 00000000E5E4: BF8CC47F
	ds_read_b128 v[72:75], v4 offset:4224                      // 00000000E5E8: D9FE1080 48000004
	ds_read_b128 v[76:79], v4 offset:4288                      // 00000000E5F0: D9FE10C0 4C000004
	ds_read_b128 v[80:83], v4 offset:4352                      // 00000000E5F8: D9FE1100 50000004
	ds_read_b128 v[84:87], v4 offset:4416                      // 00000000E600: D9FE1140 54000004
	s_waitcnt lgkmcnt(0)                                       // 00000000E608: BF8CC07F
	v_mov_b32_e32 v18, v19                                     // 00000000E60C: 7E240313
	buffer_store_dwordx4 v[56:59], v18, s[8:11], 0 offen       // 00000000E610: E07C1000 80023812
	buffer_store_dwordx4 v[72:75], v18, s[8:11], 0 offen offset:256// 00000000E618: E07C1100 80024812
	v_add_u32_e32 v18, 0x2000, v18                             // 00000000E620: 682424FF 00002000
	buffer_store_dwordx4 v[60:63], v18, s[8:11], 0 offen       // 00000000E628: E07C1000 80023C12
	buffer_store_dwordx4 v[76:79], v18, s[8:11], 0 offen offset:256// 00000000E630: E07C1100 80024C12
	v_add_u32_e32 v18, 0x2000, v18                             // 00000000E638: 682424FF 00002000
	buffer_store_dwordx4 v[64:67], v18, s[8:11], 0 offen       // 00000000E640: E07C1000 80024012
	buffer_store_dwordx4 v[80:83], v18, s[8:11], 0 offen offset:256// 00000000E648: E07C1100 80025012
	v_add_u32_e32 v18, 0x2000, v18                             // 00000000E650: 682424FF 00002000
	buffer_store_dwordx4 v[68:71], v18, s[8:11], 0 offen       // 00000000E658: E07C1000 80024412
	buffer_store_dwordx4 v[84:87], v18, s[8:11], 0 offen offset:256// 00000000E660: E07C1100 80025412
	v_add_u32_e32 v18, 0x2000, v18                             // 00000000E668: 682424FF 00002000
	v_mov_b32_e32 v20, v188                                    // 00000000E670: 7E2803BC
	v_mov_b32_e32 v21, v192                                    // 00000000E674: 7E2A03C0
	v_mov_b32_e32 v22, v196                                    // 00000000E678: 7E2C03C4
	v_mov_b32_e32 v23, v200                                    // 00000000E67C: 7E2E03C8
	v_mul_f32_e32 v20, s43, v20                                // 00000000E680: 0A28282B
	v_mul_f32_e32 v21, s43, v21                                // 00000000E684: 0A2A2A2B
	v_mul_f32_e32 v22, s43, v22                                // 00000000E688: 0A2C2C2B
	v_mul_f32_e32 v23, s43, v23                                // 00000000E68C: 0A2E2E2B
	ds_write_b128 v5, v[20:23]                                 // 00000000E690: D9BE0000 00001405
	v_mov_b32_e32 v20, v189                                    // 00000000E698: 7E2803BD
	v_mov_b32_e32 v21, v193                                    // 00000000E69C: 7E2A03C1
	v_mov_b32_e32 v22, v197                                    // 00000000E6A0: 7E2C03C5
	v_mov_b32_e32 v23, v201                                    // 00000000E6A4: 7E2E03C9
	v_mul_f32_e32 v20, s43, v20                                // 00000000E6A8: 0A28282B
	v_mul_f32_e32 v21, s43, v21                                // 00000000E6AC: 0A2A2A2B
	v_mul_f32_e32 v22, s43, v22                                // 00000000E6B0: 0A2C2C2B
	v_mul_f32_e32 v23, s43, v23                                // 00000000E6B4: 0A2E2E2B
	ds_write_b128 v5, v[20:23] offset:1056                     // 00000000E6B8: D9BE0420 00001405
	v_mov_b32_e32 v20, v190                                    // 00000000E6C0: 7E2803BE
	v_mov_b32_e32 v21, v194                                    // 00000000E6C4: 7E2A03C2
	v_mov_b32_e32 v22, v198                                    // 00000000E6C8: 7E2C03C6
	v_mov_b32_e32 v23, v202                                    // 00000000E6CC: 7E2E03CA
	v_mul_f32_e32 v20, s43, v20                                // 00000000E6D0: 0A28282B
	v_mul_f32_e32 v21, s43, v21                                // 00000000E6D4: 0A2A2A2B
	v_mul_f32_e32 v22, s43, v22                                // 00000000E6D8: 0A2C2C2B
	v_mul_f32_e32 v23, s43, v23                                // 00000000E6DC: 0A2E2E2B
	ds_write_b128 v5, v[20:23] offset:2112                     // 00000000E6E0: D9BE0840 00001405
	v_mov_b32_e32 v20, v191                                    // 00000000E6E8: 7E2803BF
	v_mov_b32_e32 v21, v195                                    // 00000000E6EC: 7E2A03C3
	v_mov_b32_e32 v22, v199                                    // 00000000E6F0: 7E2C03C7
	v_mov_b32_e32 v23, v203                                    // 00000000E6F4: 7E2E03CB
	v_mul_f32_e32 v20, s43, v20                                // 00000000E6F8: 0A28282B
	v_mul_f32_e32 v21, s43, v21                                // 00000000E6FC: 0A2A2A2B
	v_mul_f32_e32 v22, s43, v22                                // 00000000E700: 0A2C2C2B
	v_mul_f32_e32 v23, s43, v23                                // 00000000E704: 0A2E2E2B
	ds_write_b128 v5, v[20:23] offset:3168                     // 00000000E708: D9BE0C60 00001405
	v_mov_b32_e32 v20, v204                                    // 00000000E710: 7E2803CC
	v_mov_b32_e32 v21, v208                                    // 00000000E714: 7E2A03D0
	v_mov_b32_e32 v22, v212                                    // 00000000E718: 7E2C03D4
	v_mov_b32_e32 v23, v216                                    // 00000000E71C: 7E2E03D8
	v_mul_f32_e32 v20, s43, v20                                // 00000000E720: 0A28282B
	v_mul_f32_e32 v21, s43, v21                                // 00000000E724: 0A2A2A2B
	v_mul_f32_e32 v22, s43, v22                                // 00000000E728: 0A2C2C2B
	v_mul_f32_e32 v23, s43, v23                                // 00000000E72C: 0A2E2E2B
	ds_write_b128 v5, v[20:23] offset:4224                     // 00000000E730: D9BE1080 00001405
	v_mov_b32_e32 v20, v205                                    // 00000000E738: 7E2803CD
	v_mov_b32_e32 v21, v209                                    // 00000000E73C: 7E2A03D1
	v_mov_b32_e32 v22, v213                                    // 00000000E740: 7E2C03D5
	v_mov_b32_e32 v23, v217                                    // 00000000E744: 7E2E03D9
	v_mul_f32_e32 v20, s43, v20                                // 00000000E748: 0A28282B
	v_mul_f32_e32 v21, s43, v21                                // 00000000E74C: 0A2A2A2B
	v_mul_f32_e32 v22, s43, v22                                // 00000000E750: 0A2C2C2B
	v_mul_f32_e32 v23, s43, v23                                // 00000000E754: 0A2E2E2B
	ds_write_b128 v5, v[20:23] offset:5280                     // 00000000E758: D9BE14A0 00001405
	v_mov_b32_e32 v20, v206                                    // 00000000E760: 7E2803CE
	v_mov_b32_e32 v21, v210                                    // 00000000E764: 7E2A03D2
	v_mov_b32_e32 v22, v214                                    // 00000000E768: 7E2C03D6
	v_mov_b32_e32 v23, v218                                    // 00000000E76C: 7E2E03DA
	v_mul_f32_e32 v20, s43, v20                                // 00000000E770: 0A28282B
	v_mul_f32_e32 v21, s43, v21                                // 00000000E774: 0A2A2A2B
	v_mul_f32_e32 v22, s43, v22                                // 00000000E778: 0A2C2C2B
	v_mul_f32_e32 v23, s43, v23                                // 00000000E77C: 0A2E2E2B
	ds_write_b128 v5, v[20:23] offset:6336                     // 00000000E780: D9BE18C0 00001405
	v_mov_b32_e32 v20, v207                                    // 00000000E788: 7E2803CF
	v_mov_b32_e32 v21, v211                                    // 00000000E78C: 7E2A03D3
	v_mov_b32_e32 v22, v215                                    // 00000000E790: 7E2C03D7
	v_mov_b32_e32 v23, v219                                    // 00000000E794: 7E2E03DB
	v_mul_f32_e32 v20, s43, v20                                // 00000000E798: 0A28282B
	v_mul_f32_e32 v21, s43, v21                                // 00000000E79C: 0A2A2A2B
	v_mul_f32_e32 v22, s43, v22                                // 00000000E7A0: 0A2C2C2B
	v_mul_f32_e32 v23, s43, v23                                // 00000000E7A4: 0A2E2E2B
	ds_write_b128 v5, v[20:23] offset:7392                     // 00000000E7A8: D9BE1CE0 00001405
	s_waitcnt lgkmcnt(4)                                       // 00000000E7B0: BF8CC47F
	ds_read_b128 v[56:59], v4                                  // 00000000E7B4: D9FE0000 38000004
	ds_read_b128 v[60:63], v4 offset:64                        // 00000000E7BC: D9FE0040 3C000004
	ds_read_b128 v[64:67], v4 offset:128                       // 00000000E7C4: D9FE0080 40000004
	ds_read_b128 v[68:71], v4 offset:192                       // 00000000E7CC: D9FE00C0 44000004
	s_waitcnt lgkmcnt(4)                                       // 00000000E7D4: BF8CC47F
	ds_read_b128 v[72:75], v4 offset:4224                      // 00000000E7D8: D9FE1080 48000004
	ds_read_b128 v[76:79], v4 offset:4288                      // 00000000E7E0: D9FE10C0 4C000004
	ds_read_b128 v[80:83], v4 offset:4352                      // 00000000E7E8: D9FE1100 50000004
	ds_read_b128 v[84:87], v4 offset:4416                      // 00000000E7F0: D9FE1140 54000004
	s_waitcnt lgkmcnt(0)                                       // 00000000E7F8: BF8CC07F
	v_mov_b32_e32 v18, v19                                     // 00000000E7FC: 7E240313
	buffer_store_dwordx4 v[56:59], v18, s[8:11], 0 offen offset:512// 00000000E800: E07C1200 80023812
	buffer_store_dwordx4 v[72:75], v18, s[8:11], 0 offen offset:768// 00000000E808: E07C1300 80024812
	v_add_u32_e32 v18, 0x2000, v18                             // 00000000E810: 682424FF 00002000
	buffer_store_dwordx4 v[60:63], v18, s[8:11], 0 offen offset:512// 00000000E818: E07C1200 80023C12
	buffer_store_dwordx4 v[76:79], v18, s[8:11], 0 offen offset:768// 00000000E820: E07C1300 80024C12
	v_add_u32_e32 v18, 0x2000, v18                             // 00000000E828: 682424FF 00002000
	buffer_store_dwordx4 v[64:67], v18, s[8:11], 0 offen offset:512// 00000000E830: E07C1200 80024012
	buffer_store_dwordx4 v[80:83], v18, s[8:11], 0 offen offset:768// 00000000E838: E07C1300 80025012
	v_add_u32_e32 v18, 0x2000, v18                             // 00000000E840: 682424FF 00002000
	buffer_store_dwordx4 v[68:71], v18, s[8:11], 0 offen offset:512// 00000000E848: E07C1200 80024412
	buffer_store_dwordx4 v[84:87], v18, s[8:11], 0 offen offset:768// 00000000E850: E07C1300 80025412
	v_add_u32_e32 v18, 0x2000, v18                             // 00000000E858: 682424FF 00002000
	v_mov_b32_e32 v20, v220                                    // 00000000E860: 7E2803DC
	v_mov_b32_e32 v21, v224                                    // 00000000E864: 7E2A03E0
	v_mov_b32_e32 v22, v228                                    // 00000000E868: 7E2C03E4
	v_mov_b32_e32 v23, v232                                    // 00000000E86C: 7E2E03E8
	v_mul_f32_e32 v20, s43, v20                                // 00000000E870: 0A28282B
	v_mul_f32_e32 v21, s43, v21                                // 00000000E874: 0A2A2A2B
	v_mul_f32_e32 v22, s43, v22                                // 00000000E878: 0A2C2C2B
	v_mul_f32_e32 v23, s43, v23                                // 00000000E87C: 0A2E2E2B
	ds_write_b128 v5, v[20:23]                                 // 00000000E880: D9BE0000 00001405
	v_mov_b32_e32 v20, v221                                    // 00000000E888: 7E2803DD
	v_mov_b32_e32 v21, v225                                    // 00000000E88C: 7E2A03E1
	v_mov_b32_e32 v22, v229                                    // 00000000E890: 7E2C03E5
	v_mov_b32_e32 v23, v233                                    // 00000000E894: 7E2E03E9
	v_mul_f32_e32 v20, s43, v20                                // 00000000E898: 0A28282B
	v_mul_f32_e32 v21, s43, v21                                // 00000000E89C: 0A2A2A2B
	v_mul_f32_e32 v22, s43, v22                                // 00000000E8A0: 0A2C2C2B
	v_mul_f32_e32 v23, s43, v23                                // 00000000E8A4: 0A2E2E2B
	ds_write_b128 v5, v[20:23] offset:1056                     // 00000000E8A8: D9BE0420 00001405
	v_mov_b32_e32 v20, v222                                    // 00000000E8B0: 7E2803DE
	v_mov_b32_e32 v21, v226                                    // 00000000E8B4: 7E2A03E2
	v_mov_b32_e32 v22, v230                                    // 00000000E8B8: 7E2C03E6
	v_mov_b32_e32 v23, v234                                    // 00000000E8BC: 7E2E03EA
	v_mul_f32_e32 v20, s43, v20                                // 00000000E8C0: 0A28282B
	v_mul_f32_e32 v21, s43, v21                                // 00000000E8C4: 0A2A2A2B
	v_mul_f32_e32 v22, s43, v22                                // 00000000E8C8: 0A2C2C2B
	v_mul_f32_e32 v23, s43, v23                                // 00000000E8CC: 0A2E2E2B
	ds_write_b128 v5, v[20:23] offset:2112                     // 00000000E8D0: D9BE0840 00001405
	v_mov_b32_e32 v20, v223                                    // 00000000E8D8: 7E2803DF
	v_mov_b32_e32 v21, v227                                    // 00000000E8DC: 7E2A03E3
	v_mov_b32_e32 v22, v231                                    // 00000000E8E0: 7E2C03E7
	v_mov_b32_e32 v23, v235                                    // 00000000E8E4: 7E2E03EB
	v_mul_f32_e32 v20, s43, v20                                // 00000000E8E8: 0A28282B
	v_mul_f32_e32 v21, s43, v21                                // 00000000E8EC: 0A2A2A2B
	v_mul_f32_e32 v22, s43, v22                                // 00000000E8F0: 0A2C2C2B
	v_mul_f32_e32 v23, s43, v23                                // 00000000E8F4: 0A2E2E2B
	ds_write_b128 v5, v[20:23] offset:3168                     // 00000000E8F8: D9BE0C60 00001405
	v_mov_b32_e32 v20, v236                                    // 00000000E900: 7E2803EC
	v_mov_b32_e32 v21, v240                                    // 00000000E904: 7E2A03F0
	v_mov_b32_e32 v22, v244                                    // 00000000E908: 7E2C03F4
	v_mov_b32_e32 v23, v248                                    // 00000000E90C: 7E2E03F8
	v_mul_f32_e32 v20, s43, v20                                // 00000000E910: 0A28282B
	v_mul_f32_e32 v21, s43, v21                                // 00000000E914: 0A2A2A2B
	v_mul_f32_e32 v22, s43, v22                                // 00000000E918: 0A2C2C2B
	v_mul_f32_e32 v23, s43, v23                                // 00000000E91C: 0A2E2E2B
	ds_write_b128 v5, v[20:23] offset:4224                     // 00000000E920: D9BE1080 00001405
	v_mov_b32_e32 v20, v237                                    // 00000000E928: 7E2803ED
	v_mov_b32_e32 v21, v241                                    // 00000000E92C: 7E2A03F1
	v_mov_b32_e32 v22, v245                                    // 00000000E930: 7E2C03F5
	v_mov_b32_e32 v23, v249                                    // 00000000E934: 7E2E03F9
	v_mul_f32_e32 v20, s43, v20                                // 00000000E938: 0A28282B
	v_mul_f32_e32 v21, s43, v21                                // 00000000E93C: 0A2A2A2B
	v_mul_f32_e32 v22, s43, v22                                // 00000000E940: 0A2C2C2B
	v_mul_f32_e32 v23, s43, v23                                // 00000000E944: 0A2E2E2B
	ds_write_b128 v5, v[20:23] offset:5280                     // 00000000E948: D9BE14A0 00001405
	v_mov_b32_e32 v20, v238                                    // 00000000E950: 7E2803EE
	v_mov_b32_e32 v21, v242                                    // 00000000E954: 7E2A03F2
	v_mov_b32_e32 v22, v246                                    // 00000000E958: 7E2C03F6
	v_mov_b32_e32 v23, v250                                    // 00000000E95C: 7E2E03FA
	v_mul_f32_e32 v20, s43, v20                                // 00000000E960: 0A28282B
	v_mul_f32_e32 v21, s43, v21                                // 00000000E964: 0A2A2A2B
	v_mul_f32_e32 v22, s43, v22                                // 00000000E968: 0A2C2C2B
	v_mul_f32_e32 v23, s43, v23                                // 00000000E96C: 0A2E2E2B
	ds_write_b128 v5, v[20:23] offset:6336                     // 00000000E970: D9BE18C0 00001405
	v_mov_b32_e32 v20, v239                                    // 00000000E978: 7E2803EF
	v_mov_b32_e32 v21, v243                                    // 00000000E97C: 7E2A03F3
	v_mov_b32_e32 v22, v247                                    // 00000000E980: 7E2C03F7
	v_mov_b32_e32 v23, v251                                    // 00000000E984: 7E2E03FB
	v_mul_f32_e32 v20, s43, v20                                // 00000000E988: 0A28282B
	v_mul_f32_e32 v21, s43, v21                                // 00000000E98C: 0A2A2A2B
	v_mul_f32_e32 v22, s43, v22                                // 00000000E990: 0A2C2C2B
	v_mul_f32_e32 v23, s43, v23                                // 00000000E994: 0A2E2E2B
	ds_write_b128 v5, v[20:23] offset:7392                     // 00000000E998: D9BE1CE0 00001405
	s_waitcnt lgkmcnt(4)                                       // 00000000E9A0: BF8CC47F
	ds_read_b128 v[56:59], v4                                  // 00000000E9A4: D9FE0000 38000004
	ds_read_b128 v[60:63], v4 offset:64                        // 00000000E9AC: D9FE0040 3C000004
	ds_read_b128 v[64:67], v4 offset:128                       // 00000000E9B4: D9FE0080 40000004
	ds_read_b128 v[68:71], v4 offset:192                       // 00000000E9BC: D9FE00C0 44000004
	s_waitcnt lgkmcnt(4)                                       // 00000000E9C4: BF8CC47F
	ds_read_b128 v[72:75], v4 offset:4224                      // 00000000E9C8: D9FE1080 48000004
	ds_read_b128 v[76:79], v4 offset:4288                      // 00000000E9D0: D9FE10C0 4C000004
	ds_read_b128 v[80:83], v4 offset:4352                      // 00000000E9D8: D9FE1100 50000004
	ds_read_b128 v[84:87], v4 offset:4416                      // 00000000E9E0: D9FE1140 54000004
	s_waitcnt lgkmcnt(0)                                       // 00000000E9E8: BF8CC07F
	v_mov_b32_e32 v18, v19                                     // 00000000E9EC: 7E240313
	buffer_store_dwordx4 v[56:59], v18, s[8:11], 0 offen offset:1024// 00000000E9F0: E07C1400 80023812
	buffer_store_dwordx4 v[72:75], v18, s[8:11], 0 offen offset:1280// 00000000E9F8: E07C1500 80024812
	v_add_u32_e32 v18, 0x2000, v18                             // 00000000EA00: 682424FF 00002000
	buffer_store_dwordx4 v[60:63], v18, s[8:11], 0 offen offset:1024// 00000000EA08: E07C1400 80023C12
	buffer_store_dwordx4 v[76:79], v18, s[8:11], 0 offen offset:1280// 00000000EA10: E07C1500 80024C12
	v_add_u32_e32 v18, 0x2000, v18                             // 00000000EA18: 682424FF 00002000
	buffer_store_dwordx4 v[64:67], v18, s[8:11], 0 offen offset:1024// 00000000EA20: E07C1400 80024012
	buffer_store_dwordx4 v[80:83], v18, s[8:11], 0 offen offset:1280// 00000000EA28: E07C1500 80025012
	v_add_u32_e32 v18, 0x2000, v18                             // 00000000EA30: 682424FF 00002000
	buffer_store_dwordx4 v[68:71], v18, s[8:11], 0 offen offset:1024// 00000000EA38: E07C1400 80024412
	buffer_store_dwordx4 v[84:87], v18, s[8:11], 0 offen offset:1280// 00000000EA40: E07C1500 80025412
	v_add_u32_e32 v18, 0x2000, v18                             // 00000000EA48: 682424FF 00002000
	v_mov_b32_e32 v20, v252                                    // 00000000EA50: 7E2803FC
	v_accvgpr_read_b32 v21, a172                               // 00000000EA54: D3D84015 180001AC
	v_accvgpr_read_b32 v22, a176                               // 00000000EA5C: D3D84016 180001B0
	v_accvgpr_read_b32 v23, a180                               // 00000000EA64: D3D84017 180001B4
	v_mul_f32_e32 v20, s43, v20                                // 00000000EA6C: 0A28282B
	v_mul_f32_e32 v21, s43, v21                                // 00000000EA70: 0A2A2A2B
	v_mul_f32_e32 v22, s43, v22                                // 00000000EA74: 0A2C2C2B
	v_mul_f32_e32 v23, s43, v23                                // 00000000EA78: 0A2E2E2B
	ds_write_b128 v5, v[20:23]                                 // 00000000EA7C: D9BE0000 00001405
	v_mov_b32_e32 v20, v253                                    // 00000000EA84: 7E2803FD
	v_accvgpr_read_b32 v21, a173                               // 00000000EA88: D3D84015 180001AD
	v_accvgpr_read_b32 v22, a177                               // 00000000EA90: D3D84016 180001B1
	v_accvgpr_read_b32 v23, a181                               // 00000000EA98: D3D84017 180001B5
	v_mul_f32_e32 v20, s43, v20                                // 00000000EAA0: 0A28282B
	v_mul_f32_e32 v21, s43, v21                                // 00000000EAA4: 0A2A2A2B
	v_mul_f32_e32 v22, s43, v22                                // 00000000EAA8: 0A2C2C2B
	v_mul_f32_e32 v23, s43, v23                                // 00000000EAAC: 0A2E2E2B
	ds_write_b128 v5, v[20:23] offset:1056                     // 00000000EAB0: D9BE0420 00001405
	v_mov_b32_e32 v20, v254                                    // 00000000EAB8: 7E2803FE
	v_accvgpr_read_b32 v21, a174                               // 00000000EABC: D3D84015 180001AE
	v_accvgpr_read_b32 v22, a178                               // 00000000EAC4: D3D84016 180001B2
	v_accvgpr_read_b32 v23, a182                               // 00000000EACC: D3D84017 180001B6
	v_mul_f32_e32 v20, s43, v20                                // 00000000EAD4: 0A28282B
	v_mul_f32_e32 v21, s43, v21                                // 00000000EAD8: 0A2A2A2B
	v_mul_f32_e32 v22, s43, v22                                // 00000000EADC: 0A2C2C2B
	v_mul_f32_e32 v23, s43, v23                                // 00000000EAE0: 0A2E2E2B
	ds_write_b128 v5, v[20:23] offset:2112                     // 00000000EAE4: D9BE0840 00001405
	v_mov_b32_e32 v20, v255                                    // 00000000EAEC: 7E2803FF
	v_accvgpr_read_b32 v21, a175                               // 00000000EAF0: D3D84015 180001AF
	v_accvgpr_read_b32 v22, a179                               // 00000000EAF8: D3D84016 180001B3
	v_accvgpr_read_b32 v23, a183                               // 00000000EB00: D3D84017 180001B7
	v_mul_f32_e32 v20, s43, v20                                // 00000000EB08: 0A28282B
	v_mul_f32_e32 v21, s43, v21                                // 00000000EB0C: 0A2A2A2B
	v_mul_f32_e32 v22, s43, v22                                // 00000000EB10: 0A2C2C2B
	v_mul_f32_e32 v23, s43, v23                                // 00000000EB14: 0A2E2E2B
	ds_write_b128 v5, v[20:23] offset:3168                     // 00000000EB18: D9BE0C60 00001405
	v_accvgpr_read_b32 v20, a184                               // 00000000EB20: D3D84014 180001B8
	v_accvgpr_read_b32 v21, a188                               // 00000000EB28: D3D84015 180001BC
	v_accvgpr_read_b32 v22, a192                               // 00000000EB30: D3D84016 180001C0
	v_accvgpr_read_b32 v23, a196                               // 00000000EB38: D3D84017 180001C4
	v_mul_f32_e32 v20, s43, v20                                // 00000000EB40: 0A28282B
	v_mul_f32_e32 v21, s43, v21                                // 00000000EB44: 0A2A2A2B
	v_mul_f32_e32 v22, s43, v22                                // 00000000EB48: 0A2C2C2B
	v_mul_f32_e32 v23, s43, v23                                // 00000000EB4C: 0A2E2E2B
	ds_write_b128 v5, v[20:23] offset:4224                     // 00000000EB50: D9BE1080 00001405
	v_accvgpr_read_b32 v20, a185                               // 00000000EB58: D3D84014 180001B9
	v_accvgpr_read_b32 v21, a189                               // 00000000EB60: D3D84015 180001BD
	v_accvgpr_read_b32 v22, a193                               // 00000000EB68: D3D84016 180001C1
	v_accvgpr_read_b32 v23, a197                               // 00000000EB70: D3D84017 180001C5
	v_mul_f32_e32 v20, s43, v20                                // 00000000EB78: 0A28282B
	v_mul_f32_e32 v21, s43, v21                                // 00000000EB7C: 0A2A2A2B
	v_mul_f32_e32 v22, s43, v22                                // 00000000EB80: 0A2C2C2B
	v_mul_f32_e32 v23, s43, v23                                // 00000000EB84: 0A2E2E2B
	ds_write_b128 v5, v[20:23] offset:5280                     // 00000000EB88: D9BE14A0 00001405
	v_accvgpr_read_b32 v20, a186                               // 00000000EB90: D3D84014 180001BA
	v_accvgpr_read_b32 v21, a190                               // 00000000EB98: D3D84015 180001BE
	v_accvgpr_read_b32 v22, a194                               // 00000000EBA0: D3D84016 180001C2
	v_accvgpr_read_b32 v23, a198                               // 00000000EBA8: D3D84017 180001C6
	v_mul_f32_e32 v20, s43, v20                                // 00000000EBB0: 0A28282B
	v_mul_f32_e32 v21, s43, v21                                // 00000000EBB4: 0A2A2A2B
	v_mul_f32_e32 v22, s43, v22                                // 00000000EBB8: 0A2C2C2B
	v_mul_f32_e32 v23, s43, v23                                // 00000000EBBC: 0A2E2E2B
	ds_write_b128 v5, v[20:23] offset:6336                     // 00000000EBC0: D9BE18C0 00001405
	v_accvgpr_read_b32 v20, a187                               // 00000000EBC8: D3D84014 180001BB
	v_accvgpr_read_b32 v21, a191                               // 00000000EBD0: D3D84015 180001BF
	v_accvgpr_read_b32 v22, a195                               // 00000000EBD8: D3D84016 180001C3
	v_accvgpr_read_b32 v23, a199                               // 00000000EBE0: D3D84017 180001C7
	v_mul_f32_e32 v20, s43, v20                                // 00000000EBE8: 0A28282B
	v_mul_f32_e32 v21, s43, v21                                // 00000000EBEC: 0A2A2A2B
	v_mul_f32_e32 v22, s43, v22                                // 00000000EBF0: 0A2C2C2B
	v_mul_f32_e32 v23, s43, v23                                // 00000000EBF4: 0A2E2E2B
	ds_write_b128 v5, v[20:23] offset:7392                     // 00000000EBF8: D9BE1CE0 00001405
	s_waitcnt lgkmcnt(4)                                       // 00000000EC00: BF8CC47F
	ds_read_b128 v[56:59], v4                                  // 00000000EC04: D9FE0000 38000004
	ds_read_b128 v[60:63], v4 offset:64                        // 00000000EC0C: D9FE0040 3C000004
	ds_read_b128 v[64:67], v4 offset:128                       // 00000000EC14: D9FE0080 40000004
	ds_read_b128 v[68:71], v4 offset:192                       // 00000000EC1C: D9FE00C0 44000004
	s_waitcnt lgkmcnt(4)                                       // 00000000EC24: BF8CC47F
	ds_read_b128 v[72:75], v4 offset:4224                      // 00000000EC28: D9FE1080 48000004
	ds_read_b128 v[76:79], v4 offset:4288                      // 00000000EC30: D9FE10C0 4C000004
	ds_read_b128 v[80:83], v4 offset:4352                      // 00000000EC38: D9FE1100 50000004
	ds_read_b128 v[84:87], v4 offset:4416                      // 00000000EC40: D9FE1140 54000004
	s_waitcnt lgkmcnt(0)                                       // 00000000EC48: BF8CC07F
	v_mov_b32_e32 v18, v19                                     // 00000000EC4C: 7E240313
	buffer_store_dwordx4 v[56:59], v18, s[8:11], 0 offen offset:1536// 00000000EC50: E07C1600 80023812
	buffer_store_dwordx4 v[72:75], v18, s[8:11], 0 offen offset:1792// 00000000EC58: E07C1700 80024812
	v_add_u32_e32 v18, 0x2000, v18                             // 00000000EC60: 682424FF 00002000
	buffer_store_dwordx4 v[60:63], v18, s[8:11], 0 offen offset:1536// 00000000EC68: E07C1600 80023C12
	buffer_store_dwordx4 v[76:79], v18, s[8:11], 0 offen offset:1792// 00000000EC70: E07C1700 80024C12
	v_add_u32_e32 v18, 0x2000, v18                             // 00000000EC78: 682424FF 00002000
	buffer_store_dwordx4 v[64:67], v18, s[8:11], 0 offen offset:1536// 00000000EC80: E07C1600 80024012
	buffer_store_dwordx4 v[80:83], v18, s[8:11], 0 offen offset:1792// 00000000EC88: E07C1700 80025012
	v_add_u32_e32 v18, 0x2000, v18                             // 00000000EC90: 682424FF 00002000
	buffer_store_dwordx4 v[68:71], v18, s[8:11], 0 offen offset:1536// 00000000EC98: E07C1600 80024412
	buffer_store_dwordx4 v[84:87], v18, s[8:11], 0 offen offset:1792// 00000000ECA0: E07C1700 80025412
	v_add_u32_e32 v18, 0x2000, v18                             // 00000000ECA8: 682424FF 00002000
	buffer_store_dword v25, v26, s[12:15], 0 offen             // 00000000ECB0: E0701000 8003191A
	s_mov_b32 s56, 0x100                                       // 00000000ECB8: BEB800FF 00000100
	v_add_u32_e64 v26, v26, s56                                // 00000000ECC0: D134001A 0000711A

000000000000ecc8 <label_3272>:
	s_mov_b32 s56, 32                                          // 00000000ECC8: BEB800A0
	s_addk_i32 s85, 0x1                                        // 00000000ECCC: B7550001
	s_cmp_lt_i32 s85, s86                                      // 00000000ECD0: BF045655
	s_cbranch_scc1 label_0029                                  // 00000000ECD4: BF85CDB3

000000000000ecd8 <label_3276>:
	s_waitcnt vmcnt(0) expcnt(0) lgkmcnt(0)                    // 00000000ECD8: BF8C0000
	s_endpgm                                                   // 00000000ECDC: BF810000
